;; amdgpu-corpus repo=ggml-org/llama.cpp kind=compiled arch=gfx906 opt=O3
	.amdgcn_target "amdgcn-amd-amdhsa--gfx906"
	.amdhsa_code_object_version 6
	.section	.text._ZL10k_set_rowsIflfEvPKT_PKT0_PT1_llllllllllllll15HIP_vector_typeIjLj3EES9_S9_S9_S9_,"axG",@progbits,_ZL10k_set_rowsIflfEvPKT_PKT0_PT1_llllllllllllll15HIP_vector_typeIjLj3EES9_S9_S9_S9_,comdat
	.globl	_ZL10k_set_rowsIflfEvPKT_PKT0_PT1_llllllllllllll15HIP_vector_typeIjLj3EES9_S9_S9_S9_ ; -- Begin function _ZL10k_set_rowsIflfEvPKT_PKT0_PT1_llllllllllllll15HIP_vector_typeIjLj3EES9_S9_S9_S9_
	.p2align	8
	.type	_ZL10k_set_rowsIflfEvPKT_PKT0_PT1_llllllllllllll15HIP_vector_typeIjLj3EES9_S9_S9_S9_,@function
_ZL10k_set_rowsIflfEvPKT_PKT0_PT1_llllllllllllll15HIP_vector_typeIjLj3EES9_S9_S9_S9_: ; @_ZL10k_set_rowsIflfEvPKT_PKT0_PT1_llllllllllllll15HIP_vector_typeIjLj3EES9_S9_S9_S9_
; %bb.0:
	s_load_dword s0, s[4:5], 0xd4
	v_mov_b32_e32 v1, 0
	s_load_dwordx8 s[24:31], s[4:5], 0x0
	v_mov_b32_e32 v2, s6
	s_waitcnt lgkmcnt(0)
	s_and_b32 s0, s0, 0xffff
	v_mad_u64_u32 v[2:3], s[0:1], s0, v2, v[0:1]
	v_cmp_gt_i64_e32 vcc, s[30:31], v[2:3]
	s_and_saveexec_b64 s[0:1], vcc
	s_cbranch_execz .LBB0_2
; %bb.1:
	s_load_dwordx8 s[36:43], s[4:5], 0x88
	s_load_dword s33, s[4:5], 0xc0
	s_load_dwordx2 s[6:7], s[4:5], 0xb8
	s_load_dwordx4 s[0:3], s[4:5], 0xa8
	s_load_dwordx16 s[8:23], s[4:5], 0x40
	v_mov_b32_e32 v10, s27
	s_waitcnt lgkmcnt(0)
	v_mul_hi_u32 v0, v2, s36
	v_add_u32_e32 v0, v0, v2
	v_lshrrev_b32_e32 v0, s37, v0
	v_mul_hi_u32 v3, v0, s39
	v_mul_lo_u32 v6, v0, s38
	v_add_u32_e32 v3, v0, v3
	v_lshrrev_b32_e32 v5, s40, v3
	v_mul_lo_u32 v3, v5, s41
	v_mul_hi_u32 v4, v5, s42
	v_sub_u32_e32 v11, v0, v3
	v_add_u32_e32 v0, v5, v4
	v_lshrrev_b32_e32 v12, s43, v0
	v_mul_lo_u32 v7, v12, s0
	v_mad_u64_u32 v[3:4], s[30:31], s14, v11, 0
	v_mul_hi_u32 v8, v12, s6
	v_sub_u32_e32 v13, v5, v7
	v_mul_hi_u32 v7, v13, s1
	v_sub_u32_e32 v0, v2, v6
	v_mov_b32_e32 v2, v4
	v_mad_u64_u32 v[4:5], s[0:1], s15, v11, v[2:3]
	v_add_u32_e32 v6, v12, v8
	v_add_u32_e32 v5, v13, v7
	v_lshrrev_b32_e32 v2, s7, v6
	v_lshrrev_b32_e32 v5, s2, v5
	v_mul_lo_u32 v5, v5, s3
	v_mul_lo_u32 v6, v2, s33
	v_lshlrev_b64 v[2:3], 3, v[3:4]
	v_lshlrev_b64 v[0:1], 2, v[0:1]
	v_sub_u32_e32 v8, v13, v5
	v_sub_u32_e32 v14, v12, v6
	v_mad_u64_u32 v[4:5], s[0:1], s16, v8, 0
	v_mad_u64_u32 v[6:7], s[0:1], s18, v14, 0
	;; [unrolled: 1-line block ×3, first 2 shown]
	v_add_co_u32_e32 v9, vcc, s26, v2
	v_mov_b32_e32 v5, v8
	v_addc_co_u32_e32 v10, vcc, v10, v3, vcc
	v_lshlrev_b64 v[2:3], 3, v[4:5]
	v_mov_b32_e32 v4, v7
	v_mad_u64_u32 v[4:5], s[0:1], s19, v14, v[4:5]
	v_add_co_u32_e32 v8, vcc, v9, v2
	v_mov_b32_e32 v7, v4
	v_mad_u64_u32 v[4:5], s[0:1], s8, v11, 0
	v_addc_co_u32_e32 v9, vcc, v10, v3, vcc
	v_lshlrev_b64 v[2:3], 3, v[6:7]
	v_mad_u64_u32 v[5:6], s[0:1], s9, v11, v[5:6]
	v_mad_u64_u32 v[6:7], s[0:1], s10, v13, 0
	v_add_co_u32_e32 v2, vcc, v8, v2
	v_mad_u64_u32 v[7:8], s[0:1], s11, v13, v[7:8]
	v_addc_co_u32_e32 v3, vcc, v9, v3, vcc
	v_mad_u64_u32 v[8:9], s[0:1], s12, v12, 0
	global_load_dwordx2 v[2:3], v[2:3], off
	v_lshlrev_b64 v[4:5], 2, v[4:5]
	v_mov_b32_e32 v10, s25
	v_add_co_u32_e32 v11, vcc, s24, v4
	v_addc_co_u32_e32 v10, vcc, v10, v5, vcc
	v_lshlrev_b64 v[4:5], 2, v[6:7]
	v_mov_b32_e32 v6, v9
	v_mad_u64_u32 v[6:7], s[0:1], s13, v12, v[6:7]
	v_add_co_u32_e32 v7, vcc, v11, v4
	v_mov_b32_e32 v9, v6
	v_addc_co_u32_e32 v10, vcc, v10, v5, vcc
	v_lshlrev_b64 v[4:5], 2, v[8:9]
	s_load_dwordx2 s[0:1], s[4:5], 0x80
	v_add_co_u32_e32 v4, vcc, v7, v4
	v_addc_co_u32_e32 v5, vcc, v10, v5, vcc
	v_add_co_u32_e32 v4, vcc, v4, v0
	v_addc_co_u32_e32 v5, vcc, v5, v1, vcc
	global_load_dword v10, v[4:5], off
	s_waitcnt lgkmcnt(0)
	v_mad_u64_u32 v[4:5], s[2:3], s0, v12, 0
	v_mad_u64_u32 v[6:7], s[2:3], s22, v13, 0
	;; [unrolled: 1-line block ×3, first 2 shown]
	v_mov_b32_e32 v9, s29
	v_mov_b32_e32 v5, v8
	v_mad_u64_u32 v[7:8], s[0:1], s23, v13, v[7:8]
	v_lshlrev_b64 v[4:5], 2, v[4:5]
	v_lshlrev_b64 v[6:7], 2, v[6:7]
	s_waitcnt vmcnt(1)
	v_mul_lo_u32 v8, v3, s20
	v_mul_lo_u32 v11, v2, s21
	v_mad_u64_u32 v[2:3], s[0:1], v2, s20, 0
	v_add3_u32 v3, v3, v11, v8
	v_lshlrev_b64 v[2:3], 2, v[2:3]
	v_add_co_u32_e32 v2, vcc, s28, v2
	v_addc_co_u32_e32 v3, vcc, v9, v3, vcc
	v_add_co_u32_e32 v2, vcc, v2, v6
	v_addc_co_u32_e32 v3, vcc, v3, v7, vcc
	v_add_co_u32_e32 v2, vcc, v2, v4
	v_addc_co_u32_e32 v3, vcc, v3, v5, vcc
	v_add_co_u32_e32 v0, vcc, v2, v0
	v_addc_co_u32_e32 v1, vcc, v3, v1, vcc
	s_waitcnt vmcnt(0)
	global_store_dword v[0:1], v10, off
.LBB0_2:
	s_endpgm
	.section	.rodata,"a",@progbits
	.p2align	6, 0x0
	.amdhsa_kernel _ZL10k_set_rowsIflfEvPKT_PKT0_PT1_llllllllllllll15HIP_vector_typeIjLj3EES9_S9_S9_S9_
		.amdhsa_group_segment_fixed_size 0
		.amdhsa_private_segment_fixed_size 0
		.amdhsa_kernarg_size 456
		.amdhsa_user_sgpr_count 6
		.amdhsa_user_sgpr_private_segment_buffer 1
		.amdhsa_user_sgpr_dispatch_ptr 0
		.amdhsa_user_sgpr_queue_ptr 0
		.amdhsa_user_sgpr_kernarg_segment_ptr 1
		.amdhsa_user_sgpr_dispatch_id 0
		.amdhsa_user_sgpr_flat_scratch_init 0
		.amdhsa_user_sgpr_private_segment_size 0
		.amdhsa_uses_dynamic_stack 0
		.amdhsa_system_sgpr_private_segment_wavefront_offset 0
		.amdhsa_system_sgpr_workgroup_id_x 1
		.amdhsa_system_sgpr_workgroup_id_y 0
		.amdhsa_system_sgpr_workgroup_id_z 0
		.amdhsa_system_sgpr_workgroup_info 0
		.amdhsa_system_vgpr_workitem_id 0
		.amdhsa_next_free_vgpr 15
		.amdhsa_next_free_sgpr 44
		.amdhsa_reserve_vcc 1
		.amdhsa_reserve_flat_scratch 0
		.amdhsa_float_round_mode_32 0
		.amdhsa_float_round_mode_16_64 0
		.amdhsa_float_denorm_mode_32 3
		.amdhsa_float_denorm_mode_16_64 3
		.amdhsa_dx10_clamp 1
		.amdhsa_ieee_mode 1
		.amdhsa_fp16_overflow 0
		.amdhsa_exception_fp_ieee_invalid_op 0
		.amdhsa_exception_fp_denorm_src 0
		.amdhsa_exception_fp_ieee_div_zero 0
		.amdhsa_exception_fp_ieee_overflow 0
		.amdhsa_exception_fp_ieee_underflow 0
		.amdhsa_exception_fp_ieee_inexact 0
		.amdhsa_exception_int_div_zero 0
	.end_amdhsa_kernel
	.section	.text._ZL10k_set_rowsIflfEvPKT_PKT0_PT1_llllllllllllll15HIP_vector_typeIjLj3EES9_S9_S9_S9_,"axG",@progbits,_ZL10k_set_rowsIflfEvPKT_PKT0_PT1_llllllllllllll15HIP_vector_typeIjLj3EES9_S9_S9_S9_,comdat
.Lfunc_end0:
	.size	_ZL10k_set_rowsIflfEvPKT_PKT0_PT1_llllllllllllll15HIP_vector_typeIjLj3EES9_S9_S9_S9_, .Lfunc_end0-_ZL10k_set_rowsIflfEvPKT_PKT0_PT1_llllllllllllll15HIP_vector_typeIjLj3EES9_S9_S9_S9_
                                        ; -- End function
	.set _ZL10k_set_rowsIflfEvPKT_PKT0_PT1_llllllllllllll15HIP_vector_typeIjLj3EES9_S9_S9_S9_.num_vgpr, 15
	.set _ZL10k_set_rowsIflfEvPKT_PKT0_PT1_llllllllllllll15HIP_vector_typeIjLj3EES9_S9_S9_S9_.num_agpr, 0
	.set _ZL10k_set_rowsIflfEvPKT_PKT0_PT1_llllllllllllll15HIP_vector_typeIjLj3EES9_S9_S9_S9_.numbered_sgpr, 44
	.set _ZL10k_set_rowsIflfEvPKT_PKT0_PT1_llllllllllllll15HIP_vector_typeIjLj3EES9_S9_S9_S9_.num_named_barrier, 0
	.set _ZL10k_set_rowsIflfEvPKT_PKT0_PT1_llllllllllllll15HIP_vector_typeIjLj3EES9_S9_S9_S9_.private_seg_size, 0
	.set _ZL10k_set_rowsIflfEvPKT_PKT0_PT1_llllllllllllll15HIP_vector_typeIjLj3EES9_S9_S9_S9_.uses_vcc, 1
	.set _ZL10k_set_rowsIflfEvPKT_PKT0_PT1_llllllllllllll15HIP_vector_typeIjLj3EES9_S9_S9_S9_.uses_flat_scratch, 0
	.set _ZL10k_set_rowsIflfEvPKT_PKT0_PT1_llllllllllllll15HIP_vector_typeIjLj3EES9_S9_S9_S9_.has_dyn_sized_stack, 0
	.set _ZL10k_set_rowsIflfEvPKT_PKT0_PT1_llllllllllllll15HIP_vector_typeIjLj3EES9_S9_S9_S9_.has_recursion, 0
	.set _ZL10k_set_rowsIflfEvPKT_PKT0_PT1_llllllllllllll15HIP_vector_typeIjLj3EES9_S9_S9_S9_.has_indirect_call, 0
	.section	.AMDGPU.csdata,"",@progbits
; Kernel info:
; codeLenInByte = 656
; TotalNumSgprs: 48
; NumVgprs: 15
; ScratchSize: 0
; MemoryBound: 0
; FloatMode: 240
; IeeeMode: 1
; LDSByteSize: 0 bytes/workgroup (compile time only)
; SGPRBlocks: 5
; VGPRBlocks: 3
; NumSGPRsForWavesPerEU: 48
; NumVGPRsForWavesPerEU: 15
; Occupancy: 10
; WaveLimiterHint : 1
; COMPUTE_PGM_RSRC2:SCRATCH_EN: 0
; COMPUTE_PGM_RSRC2:USER_SGPR: 6
; COMPUTE_PGM_RSRC2:TRAP_HANDLER: 0
; COMPUTE_PGM_RSRC2:TGID_X_EN: 1
; COMPUTE_PGM_RSRC2:TGID_Y_EN: 0
; COMPUTE_PGM_RSRC2:TGID_Z_EN: 0
; COMPUTE_PGM_RSRC2:TIDIG_COMP_CNT: 0
	.section	.text._ZL10k_set_rowsIfl6__halfEvPKT_PKT0_PT1_llllllllllllll15HIP_vector_typeIjLj3EESA_SA_SA_SA_,"axG",@progbits,_ZL10k_set_rowsIfl6__halfEvPKT_PKT0_PT1_llllllllllllll15HIP_vector_typeIjLj3EESA_SA_SA_SA_,comdat
	.globl	_ZL10k_set_rowsIfl6__halfEvPKT_PKT0_PT1_llllllllllllll15HIP_vector_typeIjLj3EESA_SA_SA_SA_ ; -- Begin function _ZL10k_set_rowsIfl6__halfEvPKT_PKT0_PT1_llllllllllllll15HIP_vector_typeIjLj3EESA_SA_SA_SA_
	.p2align	8
	.type	_ZL10k_set_rowsIfl6__halfEvPKT_PKT0_PT1_llllllllllllll15HIP_vector_typeIjLj3EESA_SA_SA_SA_,@function
_ZL10k_set_rowsIfl6__halfEvPKT_PKT0_PT1_llllllllllllll15HIP_vector_typeIjLj3EESA_SA_SA_SA_: ; @_ZL10k_set_rowsIfl6__halfEvPKT_PKT0_PT1_llllllllllllll15HIP_vector_typeIjLj3EESA_SA_SA_SA_
; %bb.0:
	s_load_dword s0, s[4:5], 0xd4
	v_mov_b32_e32 v1, 0
	s_load_dwordx8 s[24:31], s[4:5], 0x0
	v_mov_b32_e32 v2, s6
	s_waitcnt lgkmcnt(0)
	s_and_b32 s0, s0, 0xffff
	v_mad_u64_u32 v[2:3], s[0:1], s0, v2, v[0:1]
	v_cmp_gt_i64_e32 vcc, s[30:31], v[2:3]
	s_and_saveexec_b64 s[0:1], vcc
	s_cbranch_execz .LBB1_2
; %bb.1:
	s_load_dwordx8 s[36:43], s[4:5], 0x88
	s_load_dword s33, s[4:5], 0xc0
	s_load_dwordx2 s[6:7], s[4:5], 0xb8
	s_load_dwordx4 s[0:3], s[4:5], 0xa8
	s_load_dwordx16 s[8:23], s[4:5], 0x40
	v_mov_b32_e32 v10, s27
	s_waitcnt lgkmcnt(0)
	v_mul_hi_u32 v0, v2, s36
	v_add_u32_e32 v0, v0, v2
	v_lshrrev_b32_e32 v0, s37, v0
	v_mul_hi_u32 v3, v0, s39
	v_mul_lo_u32 v6, v0, s38
	v_add_u32_e32 v3, v0, v3
	v_lshrrev_b32_e32 v5, s40, v3
	v_mul_lo_u32 v3, v5, s41
	v_mul_hi_u32 v4, v5, s42
	v_sub_u32_e32 v11, v0, v3
	v_add_u32_e32 v0, v5, v4
	v_lshrrev_b32_e32 v12, s43, v0
	v_mul_lo_u32 v7, v12, s0
	v_mad_u64_u32 v[3:4], s[30:31], s14, v11, 0
	v_mul_hi_u32 v8, v12, s6
	v_sub_u32_e32 v13, v5, v7
	v_mul_hi_u32 v7, v13, s1
	v_sub_u32_e32 v0, v2, v6
	v_mov_b32_e32 v2, v4
	v_mad_u64_u32 v[4:5], s[0:1], s15, v11, v[2:3]
	v_add_u32_e32 v6, v12, v8
	v_add_u32_e32 v5, v13, v7
	v_lshrrev_b32_e32 v2, s7, v6
	v_lshrrev_b32_e32 v5, s2, v5
	v_mul_lo_u32 v5, v5, s3
	v_mul_lo_u32 v6, v2, s33
	v_lshlrev_b64 v[2:3], 3, v[3:4]
	v_sub_u32_e32 v8, v13, v5
	v_sub_u32_e32 v14, v12, v6
	v_mad_u64_u32 v[4:5], s[0:1], s16, v8, 0
	v_mad_u64_u32 v[6:7], s[0:1], s18, v14, 0
	;; [unrolled: 1-line block ×3, first 2 shown]
	v_add_co_u32_e32 v9, vcc, s26, v2
	v_mov_b32_e32 v5, v8
	v_addc_co_u32_e32 v10, vcc, v10, v3, vcc
	v_lshlrev_b64 v[2:3], 3, v[4:5]
	v_mov_b32_e32 v4, v7
	v_mad_u64_u32 v[4:5], s[0:1], s19, v14, v[4:5]
	v_add_co_u32_e32 v8, vcc, v9, v2
	v_mov_b32_e32 v7, v4
	v_mad_u64_u32 v[4:5], s[0:1], s8, v11, 0
	v_addc_co_u32_e32 v9, vcc, v10, v3, vcc
	v_lshlrev_b64 v[2:3], 3, v[6:7]
	v_mad_u64_u32 v[5:6], s[0:1], s9, v11, v[5:6]
	v_mad_u64_u32 v[6:7], s[0:1], s10, v13, 0
	v_add_co_u32_e32 v2, vcc, v8, v2
	v_mad_u64_u32 v[7:8], s[0:1], s11, v13, v[7:8]
	v_addc_co_u32_e32 v3, vcc, v9, v3, vcc
	v_mad_u64_u32 v[8:9], s[0:1], s12, v12, 0
	v_lshlrev_b64 v[4:5], 2, v[4:5]
	v_mov_b32_e32 v10, s25
	v_add_co_u32_e32 v11, vcc, s24, v4
	v_addc_co_u32_e32 v10, vcc, v10, v5, vcc
	v_lshlrev_b64 v[4:5], 2, v[6:7]
	v_mov_b32_e32 v6, v9
	v_mad_u64_u32 v[6:7], s[0:1], s13, v12, v[6:7]
	global_load_dwordx2 v[2:3], v[2:3], off
	v_add_co_u32_e32 v7, vcc, v11, v4
	v_mov_b32_e32 v9, v6
	v_addc_co_u32_e32 v10, vcc, v10, v5, vcc
	v_lshlrev_b64 v[4:5], 2, v[8:9]
	s_load_dwordx2 s[0:1], s[4:5], 0x80
	v_add_co_u32_e32 v6, vcc, v7, v4
	v_addc_co_u32_e32 v7, vcc, v10, v5, vcc
	v_lshlrev_b64 v[4:5], 2, v[0:1]
	v_lshlrev_b64 v[0:1], 1, v[0:1]
	v_add_co_u32_e32 v4, vcc, v6, v4
	v_addc_co_u32_e32 v5, vcc, v7, v5, vcc
	global_load_dword v10, v[4:5], off
	s_waitcnt lgkmcnt(0)
	v_mad_u64_u32 v[4:5], s[2:3], s0, v12, 0
	v_mad_u64_u32 v[6:7], s[2:3], s22, v13, 0
	;; [unrolled: 1-line block ×3, first 2 shown]
	v_mov_b32_e32 v9, s29
	v_mov_b32_e32 v5, v8
	v_mad_u64_u32 v[7:8], s[0:1], s23, v13, v[7:8]
	v_lshlrev_b64 v[4:5], 1, v[4:5]
	v_lshlrev_b64 v[6:7], 1, v[6:7]
	s_waitcnt vmcnt(1)
	v_mul_lo_u32 v8, v3, s20
	v_mul_lo_u32 v11, v2, s21
	v_mad_u64_u32 v[2:3], s[0:1], v2, s20, 0
	v_add3_u32 v3, v3, v11, v8
	v_lshlrev_b64 v[2:3], 1, v[2:3]
	v_add_co_u32_e32 v2, vcc, s28, v2
	v_addc_co_u32_e32 v3, vcc, v9, v3, vcc
	v_add_co_u32_e32 v2, vcc, v2, v6
	v_addc_co_u32_e32 v3, vcc, v3, v7, vcc
	v_add_co_u32_e32 v2, vcc, v2, v4
	s_waitcnt vmcnt(0)
	v_cvt_f16_f32_e32 v10, v10
	v_addc_co_u32_e32 v3, vcc, v3, v5, vcc
	v_add_co_u32_e32 v0, vcc, v2, v0
	v_addc_co_u32_e32 v1, vcc, v3, v1, vcc
	global_store_short v[0:1], v10, off
.LBB1_2:
	s_endpgm
	.section	.rodata,"a",@progbits
	.p2align	6, 0x0
	.amdhsa_kernel _ZL10k_set_rowsIfl6__halfEvPKT_PKT0_PT1_llllllllllllll15HIP_vector_typeIjLj3EESA_SA_SA_SA_
		.amdhsa_group_segment_fixed_size 0
		.amdhsa_private_segment_fixed_size 0
		.amdhsa_kernarg_size 456
		.amdhsa_user_sgpr_count 6
		.amdhsa_user_sgpr_private_segment_buffer 1
		.amdhsa_user_sgpr_dispatch_ptr 0
		.amdhsa_user_sgpr_queue_ptr 0
		.amdhsa_user_sgpr_kernarg_segment_ptr 1
		.amdhsa_user_sgpr_dispatch_id 0
		.amdhsa_user_sgpr_flat_scratch_init 0
		.amdhsa_user_sgpr_private_segment_size 0
		.amdhsa_uses_dynamic_stack 0
		.amdhsa_system_sgpr_private_segment_wavefront_offset 0
		.amdhsa_system_sgpr_workgroup_id_x 1
		.amdhsa_system_sgpr_workgroup_id_y 0
		.amdhsa_system_sgpr_workgroup_id_z 0
		.amdhsa_system_sgpr_workgroup_info 0
		.amdhsa_system_vgpr_workitem_id 0
		.amdhsa_next_free_vgpr 15
		.amdhsa_next_free_sgpr 44
		.amdhsa_reserve_vcc 1
		.amdhsa_reserve_flat_scratch 0
		.amdhsa_float_round_mode_32 0
		.amdhsa_float_round_mode_16_64 0
		.amdhsa_float_denorm_mode_32 3
		.amdhsa_float_denorm_mode_16_64 3
		.amdhsa_dx10_clamp 1
		.amdhsa_ieee_mode 1
		.amdhsa_fp16_overflow 0
		.amdhsa_exception_fp_ieee_invalid_op 0
		.amdhsa_exception_fp_denorm_src 0
		.amdhsa_exception_fp_ieee_div_zero 0
		.amdhsa_exception_fp_ieee_overflow 0
		.amdhsa_exception_fp_ieee_underflow 0
		.amdhsa_exception_fp_ieee_inexact 0
		.amdhsa_exception_int_div_zero 0
	.end_amdhsa_kernel
	.section	.text._ZL10k_set_rowsIfl6__halfEvPKT_PKT0_PT1_llllllllllllll15HIP_vector_typeIjLj3EESA_SA_SA_SA_,"axG",@progbits,_ZL10k_set_rowsIfl6__halfEvPKT_PKT0_PT1_llllllllllllll15HIP_vector_typeIjLj3EESA_SA_SA_SA_,comdat
.Lfunc_end1:
	.size	_ZL10k_set_rowsIfl6__halfEvPKT_PKT0_PT1_llllllllllllll15HIP_vector_typeIjLj3EESA_SA_SA_SA_, .Lfunc_end1-_ZL10k_set_rowsIfl6__halfEvPKT_PKT0_PT1_llllllllllllll15HIP_vector_typeIjLj3EESA_SA_SA_SA_
                                        ; -- End function
	.set _ZL10k_set_rowsIfl6__halfEvPKT_PKT0_PT1_llllllllllllll15HIP_vector_typeIjLj3EESA_SA_SA_SA_.num_vgpr, 15
	.set _ZL10k_set_rowsIfl6__halfEvPKT_PKT0_PT1_llllllllllllll15HIP_vector_typeIjLj3EESA_SA_SA_SA_.num_agpr, 0
	.set _ZL10k_set_rowsIfl6__halfEvPKT_PKT0_PT1_llllllllllllll15HIP_vector_typeIjLj3EESA_SA_SA_SA_.numbered_sgpr, 44
	.set _ZL10k_set_rowsIfl6__halfEvPKT_PKT0_PT1_llllllllllllll15HIP_vector_typeIjLj3EESA_SA_SA_SA_.num_named_barrier, 0
	.set _ZL10k_set_rowsIfl6__halfEvPKT_PKT0_PT1_llllllllllllll15HIP_vector_typeIjLj3EESA_SA_SA_SA_.private_seg_size, 0
	.set _ZL10k_set_rowsIfl6__halfEvPKT_PKT0_PT1_llllllllllllll15HIP_vector_typeIjLj3EESA_SA_SA_SA_.uses_vcc, 1
	.set _ZL10k_set_rowsIfl6__halfEvPKT_PKT0_PT1_llllllllllllll15HIP_vector_typeIjLj3EESA_SA_SA_SA_.uses_flat_scratch, 0
	.set _ZL10k_set_rowsIfl6__halfEvPKT_PKT0_PT1_llllllllllllll15HIP_vector_typeIjLj3EESA_SA_SA_SA_.has_dyn_sized_stack, 0
	.set _ZL10k_set_rowsIfl6__halfEvPKT_PKT0_PT1_llllllllllllll15HIP_vector_typeIjLj3EESA_SA_SA_SA_.has_recursion, 0
	.set _ZL10k_set_rowsIfl6__halfEvPKT_PKT0_PT1_llllllllllllll15HIP_vector_typeIjLj3EESA_SA_SA_SA_.has_indirect_call, 0
	.section	.AMDGPU.csdata,"",@progbits
; Kernel info:
; codeLenInByte = 668
; TotalNumSgprs: 48
; NumVgprs: 15
; ScratchSize: 0
; MemoryBound: 0
; FloatMode: 240
; IeeeMode: 1
; LDSByteSize: 0 bytes/workgroup (compile time only)
; SGPRBlocks: 5
; VGPRBlocks: 3
; NumSGPRsForWavesPerEU: 48
; NumVGPRsForWavesPerEU: 15
; Occupancy: 10
; WaveLimiterHint : 1
; COMPUTE_PGM_RSRC2:SCRATCH_EN: 0
; COMPUTE_PGM_RSRC2:USER_SGPR: 6
; COMPUTE_PGM_RSRC2:TRAP_HANDLER: 0
; COMPUTE_PGM_RSRC2:TGID_X_EN: 1
; COMPUTE_PGM_RSRC2:TGID_Y_EN: 0
; COMPUTE_PGM_RSRC2:TGID_Z_EN: 0
; COMPUTE_PGM_RSRC2:TIDIG_COMP_CNT: 0
	.section	.text._ZL10k_set_rowsIfl14__hip_bfloat16EvPKT_PKT0_PT1_llllllllllllll15HIP_vector_typeIjLj3EESA_SA_SA_SA_,"axG",@progbits,_ZL10k_set_rowsIfl14__hip_bfloat16EvPKT_PKT0_PT1_llllllllllllll15HIP_vector_typeIjLj3EESA_SA_SA_SA_,comdat
	.globl	_ZL10k_set_rowsIfl14__hip_bfloat16EvPKT_PKT0_PT1_llllllllllllll15HIP_vector_typeIjLj3EESA_SA_SA_SA_ ; -- Begin function _ZL10k_set_rowsIfl14__hip_bfloat16EvPKT_PKT0_PT1_llllllllllllll15HIP_vector_typeIjLj3EESA_SA_SA_SA_
	.p2align	8
	.type	_ZL10k_set_rowsIfl14__hip_bfloat16EvPKT_PKT0_PT1_llllllllllllll15HIP_vector_typeIjLj3EESA_SA_SA_SA_,@function
_ZL10k_set_rowsIfl14__hip_bfloat16EvPKT_PKT0_PT1_llllllllllllll15HIP_vector_typeIjLj3EESA_SA_SA_SA_: ; @_ZL10k_set_rowsIfl14__hip_bfloat16EvPKT_PKT0_PT1_llllllllllllll15HIP_vector_typeIjLj3EESA_SA_SA_SA_
; %bb.0:
	s_load_dword s0, s[4:5], 0xd4
	v_mov_b32_e32 v1, 0
	s_load_dwordx8 s[24:31], s[4:5], 0x0
	v_mov_b32_e32 v2, s6
	s_waitcnt lgkmcnt(0)
	s_and_b32 s0, s0, 0xffff
	v_mad_u64_u32 v[2:3], s[0:1], s0, v2, v[0:1]
	v_cmp_gt_i64_e32 vcc, s[30:31], v[2:3]
	s_and_saveexec_b64 s[0:1], vcc
	s_cbranch_execz .LBB2_2
; %bb.1:
	s_load_dwordx8 s[36:43], s[4:5], 0x88
	s_load_dword s33, s[4:5], 0xc0
	s_load_dwordx2 s[6:7], s[4:5], 0xb8
	s_load_dwordx4 s[0:3], s[4:5], 0xa8
	s_load_dwordx16 s[8:23], s[4:5], 0x40
	v_mov_b32_e32 v10, s27
	s_waitcnt lgkmcnt(0)
	v_mul_hi_u32 v0, v2, s36
	v_add_u32_e32 v0, v0, v2
	v_lshrrev_b32_e32 v0, s37, v0
	v_mul_hi_u32 v3, v0, s39
	v_mul_lo_u32 v6, v0, s38
	v_add_u32_e32 v3, v0, v3
	v_lshrrev_b32_e32 v5, s40, v3
	v_mul_lo_u32 v3, v5, s41
	v_mul_hi_u32 v4, v5, s42
	v_sub_u32_e32 v11, v0, v3
	v_add_u32_e32 v0, v5, v4
	v_lshrrev_b32_e32 v12, s43, v0
	v_mul_lo_u32 v7, v12, s0
	v_mad_u64_u32 v[3:4], s[30:31], s14, v11, 0
	v_mul_hi_u32 v8, v12, s6
	v_sub_u32_e32 v13, v5, v7
	v_mul_hi_u32 v7, v13, s1
	v_sub_u32_e32 v0, v2, v6
	v_mov_b32_e32 v2, v4
	v_mad_u64_u32 v[4:5], s[0:1], s15, v11, v[2:3]
	v_add_u32_e32 v6, v12, v8
	v_add_u32_e32 v5, v13, v7
	v_lshrrev_b32_e32 v2, s7, v6
	v_lshrrev_b32_e32 v5, s2, v5
	v_mul_lo_u32 v5, v5, s3
	v_mul_lo_u32 v6, v2, s33
	v_lshlrev_b64 v[2:3], 3, v[3:4]
	v_sub_u32_e32 v8, v13, v5
	v_sub_u32_e32 v14, v12, v6
	v_mad_u64_u32 v[4:5], s[0:1], s16, v8, 0
	v_mad_u64_u32 v[6:7], s[0:1], s18, v14, 0
	;; [unrolled: 1-line block ×3, first 2 shown]
	v_add_co_u32_e32 v9, vcc, s26, v2
	v_mov_b32_e32 v5, v8
	v_addc_co_u32_e32 v10, vcc, v10, v3, vcc
	v_lshlrev_b64 v[2:3], 3, v[4:5]
	v_mov_b32_e32 v4, v7
	v_mad_u64_u32 v[4:5], s[0:1], s19, v14, v[4:5]
	v_add_co_u32_e32 v8, vcc, v9, v2
	v_mov_b32_e32 v7, v4
	v_mad_u64_u32 v[4:5], s[0:1], s8, v11, 0
	v_addc_co_u32_e32 v9, vcc, v10, v3, vcc
	v_lshlrev_b64 v[2:3], 3, v[6:7]
	v_mad_u64_u32 v[5:6], s[0:1], s9, v11, v[5:6]
	v_mad_u64_u32 v[6:7], s[0:1], s10, v13, 0
	v_add_co_u32_e32 v2, vcc, v8, v2
	v_mad_u64_u32 v[7:8], s[0:1], s11, v13, v[7:8]
	v_addc_co_u32_e32 v3, vcc, v9, v3, vcc
	v_mad_u64_u32 v[8:9], s[0:1], s12, v12, 0
	v_lshlrev_b64 v[4:5], 2, v[4:5]
	v_mov_b32_e32 v10, s25
	v_add_co_u32_e32 v11, vcc, s24, v4
	v_addc_co_u32_e32 v10, vcc, v10, v5, vcc
	v_lshlrev_b64 v[4:5], 2, v[6:7]
	v_mov_b32_e32 v6, v9
	global_load_dwordx2 v[2:3], v[2:3], off
	v_mad_u64_u32 v[6:7], s[0:1], s13, v12, v[6:7]
	v_add_co_u32_e32 v7, vcc, v11, v4
	v_mov_b32_e32 v9, v6
	v_addc_co_u32_e32 v10, vcc, v10, v5, vcc
	v_lshlrev_b64 v[4:5], 2, v[8:9]
	s_load_dwordx2 s[0:1], s[4:5], 0x80
	v_add_co_u32_e32 v6, vcc, v7, v4
	v_addc_co_u32_e32 v7, vcc, v10, v5, vcc
	v_lshlrev_b64 v[4:5], 2, v[0:1]
	v_mov_b32_e32 v14, s29
	v_add_co_u32_e32 v4, vcc, v6, v4
	v_addc_co_u32_e32 v5, vcc, v7, v5, vcc
	global_load_dword v11, v[4:5], off
	s_waitcnt lgkmcnt(0)
	v_mad_u64_u32 v[4:5], s[2:3], s0, v12, 0
	v_mad_u64_u32 v[6:7], s[2:3], s22, v13, 0
	s_movk_i32 s2, 0x7fff
	v_lshlrev_b64 v[0:1], 1, v[0:1]
	v_mad_u64_u32 v[8:9], s[0:1], s1, v12, v[5:6]
	v_mov_b32_e32 v5, v7
	v_mad_u64_u32 v[9:10], s[0:1], s23, v13, v[5:6]
	v_mov_b32_e32 v5, v8
	v_lshlrev_b64 v[4:5], 1, v[4:5]
	v_mov_b32_e32 v7, v9
	v_lshlrev_b64 v[6:7], 1, v[6:7]
	s_waitcnt vmcnt(1)
	v_mul_lo_u32 v8, v3, s20
	v_mul_lo_u32 v9, v2, s21
	v_mad_u64_u32 v[2:3], s[0:1], v2, s20, 0
	v_add3_u32 v3, v3, v9, v8
	v_lshlrev_b64 v[2:3], 1, v[2:3]
	v_add_co_u32_e32 v2, vcc, s28, v2
	v_addc_co_u32_e32 v3, vcc, v14, v3, vcc
	v_add_co_u32_e32 v2, vcc, v2, v6
	v_addc_co_u32_e32 v3, vcc, v3, v7, vcc
	;; [unrolled: 2-line block ×3, first 2 shown]
	s_waitcnt vmcnt(0)
	v_bfe_u32 v10, v11, 16, 1
	v_or_b32_e32 v12, 0x400000, v11
	v_add3_u32 v10, v10, v11, s2
	v_cmp_u_f32_e32 vcc, v11, v11
	v_cndmask_b32_e32 v4, v10, v12, vcc
	v_add_co_u32_e32 v0, vcc, v2, v0
	v_addc_co_u32_e32 v1, vcc, v3, v1, vcc
	global_store_short_d16_hi v[0:1], v4, off
.LBB2_2:
	s_endpgm
	.section	.rodata,"a",@progbits
	.p2align	6, 0x0
	.amdhsa_kernel _ZL10k_set_rowsIfl14__hip_bfloat16EvPKT_PKT0_PT1_llllllllllllll15HIP_vector_typeIjLj3EESA_SA_SA_SA_
		.amdhsa_group_segment_fixed_size 0
		.amdhsa_private_segment_fixed_size 0
		.amdhsa_kernarg_size 456
		.amdhsa_user_sgpr_count 6
		.amdhsa_user_sgpr_private_segment_buffer 1
		.amdhsa_user_sgpr_dispatch_ptr 0
		.amdhsa_user_sgpr_queue_ptr 0
		.amdhsa_user_sgpr_kernarg_segment_ptr 1
		.amdhsa_user_sgpr_dispatch_id 0
		.amdhsa_user_sgpr_flat_scratch_init 0
		.amdhsa_user_sgpr_private_segment_size 0
		.amdhsa_uses_dynamic_stack 0
		.amdhsa_system_sgpr_private_segment_wavefront_offset 0
		.amdhsa_system_sgpr_workgroup_id_x 1
		.amdhsa_system_sgpr_workgroup_id_y 0
		.amdhsa_system_sgpr_workgroup_id_z 0
		.amdhsa_system_sgpr_workgroup_info 0
		.amdhsa_system_vgpr_workitem_id 0
		.amdhsa_next_free_vgpr 15
		.amdhsa_next_free_sgpr 44
		.amdhsa_reserve_vcc 1
		.amdhsa_reserve_flat_scratch 0
		.amdhsa_float_round_mode_32 0
		.amdhsa_float_round_mode_16_64 0
		.amdhsa_float_denorm_mode_32 3
		.amdhsa_float_denorm_mode_16_64 3
		.amdhsa_dx10_clamp 1
		.amdhsa_ieee_mode 1
		.amdhsa_fp16_overflow 0
		.amdhsa_exception_fp_ieee_invalid_op 0
		.amdhsa_exception_fp_denorm_src 0
		.amdhsa_exception_fp_ieee_div_zero 0
		.amdhsa_exception_fp_ieee_overflow 0
		.amdhsa_exception_fp_ieee_underflow 0
		.amdhsa_exception_fp_ieee_inexact 0
		.amdhsa_exception_int_div_zero 0
	.end_amdhsa_kernel
	.section	.text._ZL10k_set_rowsIfl14__hip_bfloat16EvPKT_PKT0_PT1_llllllllllllll15HIP_vector_typeIjLj3EESA_SA_SA_SA_,"axG",@progbits,_ZL10k_set_rowsIfl14__hip_bfloat16EvPKT_PKT0_PT1_llllllllllllll15HIP_vector_typeIjLj3EESA_SA_SA_SA_,comdat
.Lfunc_end2:
	.size	_ZL10k_set_rowsIfl14__hip_bfloat16EvPKT_PKT0_PT1_llllllllllllll15HIP_vector_typeIjLj3EESA_SA_SA_SA_, .Lfunc_end2-_ZL10k_set_rowsIfl14__hip_bfloat16EvPKT_PKT0_PT1_llllllllllllll15HIP_vector_typeIjLj3EESA_SA_SA_SA_
                                        ; -- End function
	.set _ZL10k_set_rowsIfl14__hip_bfloat16EvPKT_PKT0_PT1_llllllllllllll15HIP_vector_typeIjLj3EESA_SA_SA_SA_.num_vgpr, 15
	.set _ZL10k_set_rowsIfl14__hip_bfloat16EvPKT_PKT0_PT1_llllllllllllll15HIP_vector_typeIjLj3EESA_SA_SA_SA_.num_agpr, 0
	.set _ZL10k_set_rowsIfl14__hip_bfloat16EvPKT_PKT0_PT1_llllllllllllll15HIP_vector_typeIjLj3EESA_SA_SA_SA_.numbered_sgpr, 44
	.set _ZL10k_set_rowsIfl14__hip_bfloat16EvPKT_PKT0_PT1_llllllllllllll15HIP_vector_typeIjLj3EESA_SA_SA_SA_.num_named_barrier, 0
	.set _ZL10k_set_rowsIfl14__hip_bfloat16EvPKT_PKT0_PT1_llllllllllllll15HIP_vector_typeIjLj3EESA_SA_SA_SA_.private_seg_size, 0
	.set _ZL10k_set_rowsIfl14__hip_bfloat16EvPKT_PKT0_PT1_llllllllllllll15HIP_vector_typeIjLj3EESA_SA_SA_SA_.uses_vcc, 1
	.set _ZL10k_set_rowsIfl14__hip_bfloat16EvPKT_PKT0_PT1_llllllllllllll15HIP_vector_typeIjLj3EESA_SA_SA_SA_.uses_flat_scratch, 0
	.set _ZL10k_set_rowsIfl14__hip_bfloat16EvPKT_PKT0_PT1_llllllllllllll15HIP_vector_typeIjLj3EESA_SA_SA_SA_.has_dyn_sized_stack, 0
	.set _ZL10k_set_rowsIfl14__hip_bfloat16EvPKT_PKT0_PT1_llllllllllllll15HIP_vector_typeIjLj3EESA_SA_SA_SA_.has_recursion, 0
	.set _ZL10k_set_rowsIfl14__hip_bfloat16EvPKT_PKT0_PT1_llllllllllllll15HIP_vector_typeIjLj3EESA_SA_SA_SA_.has_indirect_call, 0
	.section	.AMDGPU.csdata,"",@progbits
; Kernel info:
; codeLenInByte = 708
; TotalNumSgprs: 48
; NumVgprs: 15
; ScratchSize: 0
; MemoryBound: 0
; FloatMode: 240
; IeeeMode: 1
; LDSByteSize: 0 bytes/workgroup (compile time only)
; SGPRBlocks: 5
; VGPRBlocks: 3
; NumSGPRsForWavesPerEU: 48
; NumVGPRsForWavesPerEU: 15
; Occupancy: 10
; WaveLimiterHint : 1
; COMPUTE_PGM_RSRC2:SCRATCH_EN: 0
; COMPUTE_PGM_RSRC2:USER_SGPR: 6
; COMPUTE_PGM_RSRC2:TRAP_HANDLER: 0
; COMPUTE_PGM_RSRC2:TGID_X_EN: 1
; COMPUTE_PGM_RSRC2:TGID_Y_EN: 0
; COMPUTE_PGM_RSRC2:TGID_Z_EN: 0
; COMPUTE_PGM_RSRC2:TIDIG_COMP_CNT: 0
	.section	.text._ZL16k_set_rows_quantIl10block_q4_0Li32ETnPFvPKfPT0_EXadL_ZL23quantize_f32_q4_0_blockS2_PS0_EEEvS2_PKT_S4_llllllllllllll15HIP_vector_typeIjLj3EESC_SC_SC_SC_,"axG",@progbits,_ZL16k_set_rows_quantIl10block_q4_0Li32ETnPFvPKfPT0_EXadL_ZL23quantize_f32_q4_0_blockS2_PS0_EEEvS2_PKT_S4_llllllllllllll15HIP_vector_typeIjLj3EESC_SC_SC_SC_,comdat
	.globl	_ZL16k_set_rows_quantIl10block_q4_0Li32ETnPFvPKfPT0_EXadL_ZL23quantize_f32_q4_0_blockS2_PS0_EEEvS2_PKT_S4_llllllllllllll15HIP_vector_typeIjLj3EESC_SC_SC_SC_ ; -- Begin function _ZL16k_set_rows_quantIl10block_q4_0Li32ETnPFvPKfPT0_EXadL_ZL23quantize_f32_q4_0_blockS2_PS0_EEEvS2_PKT_S4_llllllllllllll15HIP_vector_typeIjLj3EESC_SC_SC_SC_
	.p2align	8
	.type	_ZL16k_set_rows_quantIl10block_q4_0Li32ETnPFvPKfPT0_EXadL_ZL23quantize_f32_q4_0_blockS2_PS0_EEEvS2_PKT_S4_llllllllllllll15HIP_vector_typeIjLj3EESC_SC_SC_SC_,@function
_ZL16k_set_rows_quantIl10block_q4_0Li32ETnPFvPKfPT0_EXadL_ZL23quantize_f32_q4_0_blockS2_PS0_EEEvS2_PKT_S4_llllllllllllll15HIP_vector_typeIjLj3EESC_SC_SC_SC_: ; @_ZL16k_set_rows_quantIl10block_q4_0Li32ETnPFvPKfPT0_EXadL_ZL23quantize_f32_q4_0_blockS2_PS0_EEEvS2_PKT_S4_llllllllllllll15HIP_vector_typeIjLj3EESC_SC_SC_SC_
; %bb.0:
	s_load_dword s2, s[4:5], 0xd4
	s_load_dwordx2 s[0:1], s[4:5], 0x18
	v_mov_b32_e32 v1, 0
	v_mov_b32_e32 v2, s6
	s_waitcnt lgkmcnt(0)
	s_and_b32 s2, s2, 0xffff
	v_mad_u64_u32 v[2:3], s[2:3], s2, v2, v[0:1]
	v_cmp_gt_i64_e32 vcc, s[0:1], v[2:3]
	s_and_saveexec_b64 s[0:1], vcc
	s_cbranch_execz .LBB3_2
; %bb.1:
	s_load_dwordx8 s[8:15], s[4:5], 0x88
	v_lshlrev_b32_e32 v0, 5, v2
	s_load_dwordx16 s[56:71], s[4:5], 0x40
	s_load_dwordx4 s[0:3], s[4:5], 0xa8
	s_load_dwordx2 s[74:75], s[4:5], 0xb8
	s_load_dwordx4 s[16:19], s[4:5], 0x0
	s_load_dwordx2 s[72:73], s[4:5], 0x10
	s_load_dword s33, s[4:5], 0xc0
	s_waitcnt lgkmcnt(0)
	v_mul_hi_u32 v2, s8, v0
	v_mov_b32_e32 v9, s17
	v_mov_b32_e32 v41, s19
	v_add_u32_e32 v2, v0, v2
	v_lshrrev_b32_e32 v2, s9, v2
	v_mul_hi_u32 v3, v2, s11
	v_mul_lo_u32 v7, v2, s10
	v_add_u32_e32 v3, v2, v3
	v_lshrrev_b32_e32 v5, s12, v3
	v_mul_lo_u32 v3, v5, s13
	v_mul_hi_u32 v4, v5, s14
	v_sub_u32_e32 v0, v0, v7
	v_sub_u32_e32 v39, v2, v3
	v_add_u32_e32 v3, v5, v4
	v_lshrrev_b32_e32 v36, s15, v3
	v_mad_u64_u32 v[3:4], s[6:7], s56, v39, 0
	v_mul_lo_u32 v6, v36, s0
	v_mad_u64_u32 v[37:38], s[6:7], s62, v39, 0
	v_mov_b32_e32 v2, v4
	v_sub_u32_e32 v35, v5, v6
	v_mad_u64_u32 v[4:5], s[6:7], s57, v39, v[2:3]
	v_mad_u64_u32 v[5:6], s[6:7], s58, v35, 0
	v_lshlrev_b64 v[2:3], 2, v[3:4]
	v_mul_hi_u32 v40, v35, s1
	v_mov_b32_e32 v4, v6
	v_mad_u64_u32 v[6:7], s[6:7], s59, v35, v[4:5]
	v_mad_u64_u32 v[7:8], s[6:7], s60, v36, 0
	v_add_co_u32_e32 v10, vcc, s16, v2
	v_mov_b32_e32 v4, v8
	v_addc_co_u32_e32 v9, vcc, v9, v3, vcc
	v_lshlrev_b64 v[2:3], 2, v[5:6]
	v_mad_u64_u32 v[4:5], s[6:7], s61, v36, v[4:5]
	v_add_co_u32_e32 v5, vcc, v10, v2
	v_mov_b32_e32 v8, v4
	v_addc_co_u32_e32 v6, vcc, v9, v3, vcc
	v_lshlrev_b64 v[2:3], 2, v[7:8]
	v_mov_b32_e32 v34, v38
	v_add_co_u32_e32 v4, vcc, v5, v2
	v_addc_co_u32_e32 v5, vcc, v6, v3, vcc
	v_lshlrev_b64 v[2:3], 2, v[0:1]
	v_mad_u64_u32 v[38:39], s[0:1], s63, v39, v[34:35]
	v_add_co_u32_e32 v2, vcc, v4, v2
	v_addc_co_u32_e32 v3, vcc, v5, v3, vcc
	global_load_dwordx4 v[26:29], v[2:3], off
	global_load_dwordx4 v[18:21], v[2:3], off offset:16
	global_load_dwordx4 v[14:17], v[2:3], off offset:32
	;; [unrolled: 1-line block ×6, first 2 shown]
	s_nop 0
	global_load_dwordx4 v[2:5], v[2:3], off offset:112
	v_add_u32_e32 v34, v35, v40
	v_lshrrev_b32_e32 v34, s2, v34
	v_mul_lo_u32 v34, v34, s3
	v_lshlrev_b64 v[37:38], 3, v[37:38]
	v_mul_hi_u32 v42, v36, s74
	v_add_co_u32_e32 v44, vcc, s18, v37
	v_sub_u32_e32 v43, v35, v34
	v_mad_u64_u32 v[39:40], s[0:1], s64, v43, 0
	v_addc_co_u32_e32 v41, vcc, v41, v38, vcc
	v_mov_b32_e32 v34, v40
	v_mad_u64_u32 v[37:38], s[0:1], s65, v43, v[34:35]
	v_add_u32_e32 v38, v36, v42
	v_lshrrev_b32_e32 v38, s75, v38
	v_mul_lo_u32 v42, v38, s33
	v_mov_b32_e32 v40, v37
	v_lshlrev_b64 v[37:38], 3, v[39:40]
	v_lshrrev_b32_e32 v0, 5, v0
	v_sub_u32_e32 v42, v36, v42
	v_mad_u64_u32 v[39:40], s[64:65], s66, v42, 0
	v_add_co_u32_e64 v44, s[64:65], v44, v37
	v_addc_co_u32_e64 v41, s[64:65], v41, v38, s[64:65]
	s_waitcnt vmcnt(7)
	v_cmp_lg_f32_e32 vcc, 0, v26
	v_cndmask_b32_e64 v34, 0, |v26|, vcc
	v_cmp_lt_f32_e64 s[0:1], v34, |v27|
	v_cndmask_b32_e64 v34, v34, |v27|, s[0:1]
	v_cmp_lt_f32_e64 s[2:3], v34, |v28|
	v_cndmask_b32_e64 v34, v34, |v28|, s[2:3]
	v_cmp_lt_f32_e64 s[6:7], v34, |v29|
	v_cndmask_b32_e64 v34, v34, |v29|, s[6:7]
	s_waitcnt vmcnt(6)
	v_cmp_lt_f32_e64 s[8:9], v34, |v18|
	v_cndmask_b32_e64 v34, v34, |v18|, s[8:9]
	v_cmp_lt_f32_e64 s[10:11], v34, |v19|
	v_cndmask_b32_e64 v34, v34, |v19|, s[10:11]
	v_cmp_lt_f32_e64 s[12:13], v34, |v20|
	v_cndmask_b32_e64 v34, v34, |v20|, s[12:13]
	v_cmp_lt_f32_e64 s[14:15], v34, |v21|
	v_cndmask_b32_e64 v34, v34, |v21|, s[14:15]
	s_waitcnt vmcnt(5)
	v_cmp_lt_f32_e64 s[16:17], v34, |v14|
	v_cndmask_b32_e64 v34, v34, |v14|, s[16:17]
	;; [unrolled: 9-line block ×7, first 2 shown]
	v_cmp_lt_f32_e64 s[60:61], v34, |v3|
	v_cndmask_b32_e64 v34, v34, |v3|, s[60:61]
	v_cmp_lt_f32_e64 s[62:63], v34, |v4|
	v_cndmask_b32_e64 v43, v34, |v4|, s[62:63]
	v_mov_b32_e32 v34, v40
	v_mad_u64_u32 v[37:38], s[64:65], s67, v42, v[34:35]
	v_cndmask_b32_e32 v34, 0, v26, vcc
	v_cndmask_b32_e64 v34, v34, v27, s[0:1]
	v_cndmask_b32_e64 v34, v34, v28, s[2:3]
	;; [unrolled: 1-line block ×28, first 2 shown]
	v_mov_b32_e32 v40, v37
	v_cndmask_b32_e64 v34, v34, v3, s[60:61]
	v_lshlrev_b64 v[37:38], 3, v[39:40]
	v_cndmask_b32_e64 v34, v34, v4, s[62:63]
	v_cmp_lt_f32_e64 vcc, v43, |v5|
	v_cndmask_b32_e32 v42, v34, v5, vcc
	v_add_co_u32_e32 v37, vcc, v44, v37
	v_addc_co_u32_e32 v38, vcc, v41, v38, vcc
	global_load_dwordx2 v[37:38], v[37:38], off
	v_mul_f32_e32 v34, 0xbe000000, v42
	v_div_scale_f32 v43, s[0:1], v34, v34, 1.0
	v_div_scale_f32 v39, vcc, 1.0, v34, 1.0
	v_rcp_f32_e32 v40, v43
	v_fma_f32 v41, -v43, v40, 1.0
	v_fmac_f32_e32 v40, v41, v40
	v_mul_f32_e32 v41, v39, v40
	v_fma_f32 v44, -v43, v41, v39
	v_fmac_f32_e32 v41, v44, v40
	v_fma_f32 v39, -v43, v41, v39
	v_div_fmas_f32 v39, v39, v40, v41
	v_cmp_neq_f32_e32 vcc, 0, v34
	v_div_fixup_f32 v39, v39, v34, 1.0
	v_cndmask_b32_e32 v39, 0, v39, vcc
	v_mov_b32_e32 v34, 0x41080000
	v_fma_f32 v43, v28, v39, v34
	v_fma_f32 v44, v29, v39, v34
	;; [unrolled: 1-line block ×12, first 2 shown]
	v_mov_b32_e32 v31, v1
	v_fma_f32 v47, v32, v39, v34
	v_fma_f32 v48, v33, v39, v34
	v_mov_b32_e32 v33, v1
	v_fma_f32 v40, v26, v39, v34
	v_fma_f32 v26, v21, v39, v34
	;; [unrolled: 1-line block ×7, first 2 shown]
	v_cvt_i32_f32_e32 v17, v43
	v_cvt_i32_f32_e32 v21, v21
	;; [unrolled: 1-line block ×4, first 2 shown]
	s_waitcnt vmcnt(0)
	v_mad_u64_u32 v[19:20], s[0:1], v37, s68, 0
	v_mul_lo_u32 v23, v38, s68
	v_mul_lo_u32 v24, v37, s69
	s_load_dwordx2 s[0:1], s[4:5], 0x80
	v_add3_u32 v20, v20, v24, v23
	s_waitcnt lgkmcnt(0)
	v_mad_u64_u32 v[23:24], s[2:3], s0, v36, v[19:20]
	v_fma_f32 v20, v15, v39, v34
	v_fma_f32 v19, v16, v39, v34
	v_mov_b32_e32 v15, v24
	v_mad_u64_u32 v[15:16], s[0:1], s1, v36, v[15:16]
	v_fma_f32 v16, v12, v39, v34
	s_mov_b32 s2, 0xe38e38e3
	v_mov_b32_e32 v24, v15
	v_mad_u64_u32 v[23:24], s[0:1], s70, v35, v[23:24]
	v_fma_f32 v15, v11, v39, v34
	v_fma_f32 v11, v13, v39, v34
	v_mov_b32_e32 v10, v24
	v_mad_u64_u32 v[12:13], s[0:1], s71, v35, v[10:11]
	s_mov_b32 s0, 0x8e38e38f
	v_mul_hi_u32 v30, v23, s0
	v_fma_f32 v13, v6, v39, v34
	v_fma_f32 v10, v7, v39, v34
	v_cvt_i32_f32_e32 v16, v16
	v_mad_u64_u32 v[30:31], s[0:1], v12, s0, v[30:31]
	v_cvt_i32_f32_e32 v10, v10
	v_mov_b32_e32 v32, v30
	v_mad_u64_u32 v[23:24], s[0:1], v23, s2, v[32:33]
	v_add_co_u32_e32 v6, vcc, v31, v24
	v_addc_co_u32_e64 v7, s[0:1], 0, 0, vcc
	v_mad_u64_u32 v[23:24], s[0:1], v12, s2, v[6:7]
	v_fma_f32 v6, v9, v39, v34
	v_cvt_i32_f32_e32 v9, v45
	v_alignbit_b32 v1, v24, v23, 4
	v_fma_f32 v12, v2, v39, v34
	v_mad_u64_u32 v[1:2], s[0:1], v1, 18, s[72:73]
	v_fma_f32 v7, v3, v39, v34
	v_lshrrev_b32_e32 v3, 4, v24
	v_cvt_f64_i32_e32 v[30:31], v9
	v_mad_u64_u32 v[2:3], s[0:1], v3, 18, v[2:3]
	s_mov_b32 s0, 0
	v_fmac_f32_e32 v34, v5, v39
	v_cvt_i32_f32_e32 v5, v40
	s_mov_b32 s1, 0x402e0000
	v_min_f64 v[30:31], v[30:31], s[0:1]
	v_mad_u64_u32 v[0:1], s[2:3], v0, 18, v[1:2]
	v_cvt_f64_i32_e32 v[23:24], v5
	v_cvt_i32_f32_e32 v2, v41
	s_mov_b32 s2, 0xbe000000
	v_fma_mixlo_f16 v32, v42, s2, 0
	v_min_f64 v[23:24], v[23:24], s[0:1]
	v_cvt_i32_f64_e32 v9, v[30:31]
	v_cvt_i32_f32_e32 v30, v47
	v_cvt_f64_i32_e32 v[2:3], v2
	global_store_short v[0:1], v32, off
	v_cvt_f64_i32_e32 v[30:31], v30
	v_cvt_i32_f64_e32 v5, v[23:24]
	v_min_f64 v[23:24], v[2:3], s[0:1]
	v_cvt_f64_i32_e32 v[2:3], v17
	v_cvt_i32_f32_e32 v17, v46
	v_min_f64 v[30:31], v[30:31], s[0:1]
	v_min_f64 v[32:33], v[2:3], s[0:1]
	v_cvt_f64_i32_e32 v[35:36], v17
	v_lshlrev_b16_e32 v2, 4, v9
	v_cvt_i32_f32_e32 v9, v50
	v_or_b32_e32 v2, v2, v5
	v_min_f64 v[35:36], v[35:36], s[0:1]
	v_cvt_i32_f32_e32 v5, v49
	v_cvt_i32_f64_e32 v37, v[30:31]
	v_cvt_f64_i32_e32 v[30:31], v9
	v_cvt_i32_f64_e32 v3, v[23:24]
	v_cvt_f64_i32_e32 v[23:24], v5
	v_cvt_i32_f32_e32 v9, v44
	v_min_f64 v[30:31], v[30:31], s[0:1]
	v_cvt_i32_f64_e32 v17, v[32:33]
	v_cvt_i32_f64_e32 v5, v[35:36]
	v_min_f64 v[23:24], v[23:24], s[0:1]
	v_cvt_i32_f32_e32 v35, v48
	v_cvt_f64_i32_e32 v[32:33], v9
	v_lshlrev_b16_e32 v9, 4, v37
	v_or_b32_e32 v9, v9, v17
	v_cvt_f64_i32_e32 v[35:36], v35
	v_cvt_i32_f32_e32 v17, v22
	v_cvt_i32_f64_e32 v40, v[30:31]
	v_cvt_i32_f32_e32 v22, v28
	v_cvt_i32_f32_e32 v30, v29
	v_cvt_i32_f64_e32 v39, v[23:24]
	v_min_f64 v[23:24], v[35:36], s[0:1]
	v_cvt_i32_f32_e32 v35, v18
	v_cvt_f64_i32_e32 v[17:18], v17
	v_cvt_f64_i32_e32 v[28:29], v22
	;; [unrolled: 1-line block ×3, first 2 shown]
	v_min_f64 v[32:33], v[32:33], s[0:1]
	v_min_f64 v[37:38], v[17:18], s[0:1]
	;; [unrolled: 1-line block ×4, first 2 shown]
	v_cvt_f64_i32_e32 v[35:36], v35
	v_cvt_i32_f64_e32 v18, v[23:24]
	v_lshlrev_b16_e32 v22, 4, v40
	v_or_b32_e32 v22, v22, v39
	v_cvt_i32_f64_e32 v17, v[32:33]
	v_cvt_i32_f64_e32 v32, v[37:38]
	;; [unrolled: 1-line block ×4, first 2 shown]
	v_cvt_i32_f32_e32 v31, v27
	v_min_f64 v[35:36], v[35:36], s[0:1]
	v_cvt_i32_f32_e32 v30, v25
	v_lshlrev_b16_e32 v29, 4, v32
	v_or_b32_e32 v25, v29, v28
	v_cvt_i32_f32_e32 v32, v26
	v_cvt_f64_i32_e32 v[28:29], v31
	v_cvt_f64_i32_e32 v[26:27], v30
	v_lshlrev_b16_e32 v3, 8, v3
	v_cvt_f64_i32_e32 v[30:31], v32
	v_min_f64 v[28:29], v[28:29], s[0:1]
	v_cvt_f64_i32_e32 v[32:33], v21
	v_cvt_i32_f64_e32 v24, v[35:36]
	v_min_f64 v[26:27], v[26:27], s[0:1]
	v_cvt_i32_f32_e32 v21, v20
	v_cvt_i32_f32_e32 v35, v19
	v_min_f64 v[19:20], v[30:31], s[0:1]
	v_min_f64 v[30:31], v[32:33], s[0:1]
	v_cvt_f64_i32_e32 v[32:33], v21
	v_cvt_f64_i32_e32 v[35:36], v35
	v_cvt_i32_f64_e32 v37, v[28:29]
	v_cvt_i32_f64_e32 v21, v[26:27]
	v_min_f64 v[26:27], v[32:33], s[0:1]
	v_min_f64 v[28:29], v[35:36], s[0:1]
	v_cvt_i32_f64_e32 v19, v[19:20]
	v_cvt_i32_f64_e32 v20, v[30:31]
	v_lshlrev_b16_e32 v30, 4, v37
	v_or_b32_e32 v21, v30, v21
	v_cvt_i32_f32_e32 v30, v15
	v_cvt_f64_i32_e32 v[15:16], v16
	v_cvt_i32_f64_e32 v32, v[26:27]
	v_cvt_i32_f64_e32 v33, v[28:29]
	v_cvt_f64_i32_e32 v[26:27], v30
	v_cvt_i32_f32_e32 v28, v14
	v_cvt_i32_f32_e32 v29, v13
	v_min_f64 v[13:14], v[15:16], s[0:1]
	v_min_f64 v[15:16], v[26:27], s[0:1]
	v_cvt_f64_i32_e32 v[26:27], v28
	v_cvt_f64_i32_e32 v[28:29], v29
	v_cvt_i32_f32_e32 v30, v12
	v_cvt_i32_f32_e32 v31, v11
	v_min_f64 v[11:12], v[26:27], s[0:1]
	v_min_f64 v[26:27], v[28:29], s[0:1]
	v_cvt_f64_i32_e32 v[28:29], v30
	v_cvt_i32_f64_e32 v35, v[13:14]
	v_cvt_f64_i32_e32 v[30:31], v31
	v_cvt_i32_f64_e32 v36, v[15:16]
	v_min_f64 v[13:14], v[28:29], s[0:1]
	v_lshlrev_b16_e32 v28, 4, v35
	v_min_f64 v[15:16], v[30:31], s[0:1]
	v_cvt_i32_f64_e32 v31, v[11:12]
	v_cvt_f64_i32_e32 v[10:11], v10
	v_or_b32_e32 v30, v28, v33
	v_cvt_i32_f64_e32 v33, v[26:27]
	v_cvt_i32_f64_e32 v35, v[13:14]
	v_cvt_f64_i32_e32 v[12:13], v8
	v_cvt_i32_f32_e32 v14, v7
	v_min_f64 v[7:8], v[10:11], s[0:1]
	v_cvt_i32_f64_e32 v16, v[15:16]
	v_min_f64 v[10:11], v[12:13], s[0:1]
	v_cvt_f64_i32_e32 v[12:13], v4
	v_cvt_i32_f32_e32 v4, v6
	v_cvt_i32_f32_e32 v6, v34
	v_cvt_f64_i32_e32 v[14:15], v14
	v_min_f64 v[12:13], v[12:13], s[0:1]
	v_cvt_f64_i32_e32 v[26:27], v4
	v_cvt_f64_i32_e32 v[28:29], v6
	v_min_f64 v[14:15], v[14:15], s[0:1]
	v_cvt_i32_f64_e32 v10, v[10:11]
	v_min_f64 v[26:27], v[26:27], s[0:1]
	v_min_f64 v[28:29], v[28:29], s[0:1]
	v_cvt_i32_f64_e32 v7, v[7:8]
	v_cvt_i32_f64_e32 v6, v[12:13]
	v_lshlrev_b16_e32 v4, 4, v35
	v_or_b32_e32 v4, v4, v33
	v_cvt_i32_f64_e32 v8, v[14:15]
	v_lshlrev_b16_e32 v6, 4, v6
	v_or_b32_e32 v6, v6, v10
	v_cvt_i32_f64_e32 v10, v[26:27]
	v_cvt_i32_f64_e32 v11, v[28:29]
	v_lshlrev_b16_e32 v7, 8, v7
	v_lshlrev_b16_e32 v8, 12, v8
	v_or_b32_e32 v7, v8, v7
	v_or_b32_sdwa v4, v4, v7 dst_sel:DWORD dst_unused:UNUSED_PAD src0_sel:BYTE_0 src1_sel:DWORD
	v_lshlrev_b16_e32 v7, 8, v10
	v_lshlrev_b16_e32 v8, 12, v11
	v_or_b32_e32 v7, v8, v7
	v_or_b32_sdwa v6, v6, v7 dst_sel:WORD_1 dst_unused:UNUSED_PAD src0_sel:BYTE_0 src1_sel:DWORD
	v_lshlrev_b16_e32 v7, 8, v32
	v_lshlrev_b16_e32 v8, 12, v36
	v_or_b32_e32 v7, v8, v7
	v_lshlrev_b16_e32 v8, 8, v31
	v_lshlrev_b16_e32 v10, 12, v16
	v_or_b32_e32 v8, v10, v8
	v_or_b32_sdwa v7, v21, v7 dst_sel:DWORD dst_unused:UNUSED_PAD src0_sel:BYTE_0 src1_sel:DWORD
	v_or_b32_sdwa v10, v30, v8 dst_sel:WORD_1 dst_unused:UNUSED_PAD src0_sel:BYTE_0 src1_sel:DWORD
	v_or_b32_sdwa v8, v4, v6 dst_sel:DWORD dst_unused:UNUSED_PAD src0_sel:WORD_0 src1_sel:DWORD
	v_lshlrev_b16_e32 v4, 8, v23
	v_lshlrev_b16_e32 v6, 12, v24
	v_or_b32_sdwa v7, v7, v10 dst_sel:DWORD dst_unused:UNUSED_PAD src0_sel:WORD_0 src1_sel:DWORD
	v_or_b32_e32 v4, v6, v4
	v_lshlrev_b16_e32 v6, 8, v19
	v_lshlrev_b16_e32 v10, 12, v20
	v_or_b32_e32 v6, v10, v6
	v_or_b32_sdwa v4, v22, v4 dst_sel:DWORD dst_unused:UNUSED_PAD src0_sel:BYTE_0 src1_sel:DWORD
	v_or_b32_sdwa v6, v25, v6 dst_sel:WORD_1 dst_unused:UNUSED_PAD src0_sel:BYTE_0 src1_sel:DWORD
	v_or_b32_sdwa v6, v4, v6 dst_sel:DWORD dst_unused:UNUSED_PAD src0_sel:WORD_0 src1_sel:DWORD
	v_lshlrev_b16_e32 v4, 12, v5
	v_or_b32_e32 v3, v4, v3
	v_or_b32_sdwa v2, v2, v3 dst_sel:DWORD dst_unused:UNUSED_PAD src0_sel:BYTE_0 src1_sel:DWORD
	v_lshlrev_b16_e32 v3, 8, v17
	v_lshlrev_b16_e32 v4, 12, v18
	v_or_b32_e32 v3, v4, v3
	v_or_b32_sdwa v3, v9, v3 dst_sel:WORD_1 dst_unused:UNUSED_PAD src0_sel:BYTE_0 src1_sel:DWORD
	v_or_b32_sdwa v5, v2, v3 dst_sel:DWORD dst_unused:UNUSED_PAD src0_sel:WORD_0 src1_sel:DWORD
	global_store_dwordx4 v[0:1], v[5:8], off offset:2
.LBB3_2:
	s_endpgm
	.section	.rodata,"a",@progbits
	.p2align	6, 0x0
	.amdhsa_kernel _ZL16k_set_rows_quantIl10block_q4_0Li32ETnPFvPKfPT0_EXadL_ZL23quantize_f32_q4_0_blockS2_PS0_EEEvS2_PKT_S4_llllllllllllll15HIP_vector_typeIjLj3EESC_SC_SC_SC_
		.amdhsa_group_segment_fixed_size 0
		.amdhsa_private_segment_fixed_size 0
		.amdhsa_kernarg_size 456
		.amdhsa_user_sgpr_count 6
		.amdhsa_user_sgpr_private_segment_buffer 1
		.amdhsa_user_sgpr_dispatch_ptr 0
		.amdhsa_user_sgpr_queue_ptr 0
		.amdhsa_user_sgpr_kernarg_segment_ptr 1
		.amdhsa_user_sgpr_dispatch_id 0
		.amdhsa_user_sgpr_flat_scratch_init 0
		.amdhsa_user_sgpr_private_segment_size 0
		.amdhsa_uses_dynamic_stack 0
		.amdhsa_system_sgpr_private_segment_wavefront_offset 0
		.amdhsa_system_sgpr_workgroup_id_x 1
		.amdhsa_system_sgpr_workgroup_id_y 0
		.amdhsa_system_sgpr_workgroup_id_z 0
		.amdhsa_system_sgpr_workgroup_info 0
		.amdhsa_system_vgpr_workitem_id 0
		.amdhsa_next_free_vgpr 51
		.amdhsa_next_free_sgpr 76
		.amdhsa_reserve_vcc 1
		.amdhsa_reserve_flat_scratch 0
		.amdhsa_float_round_mode_32 0
		.amdhsa_float_round_mode_16_64 0
		.amdhsa_float_denorm_mode_32 3
		.amdhsa_float_denorm_mode_16_64 3
		.amdhsa_dx10_clamp 1
		.amdhsa_ieee_mode 1
		.amdhsa_fp16_overflow 0
		.amdhsa_exception_fp_ieee_invalid_op 0
		.amdhsa_exception_fp_denorm_src 0
		.amdhsa_exception_fp_ieee_div_zero 0
		.amdhsa_exception_fp_ieee_overflow 0
		.amdhsa_exception_fp_ieee_underflow 0
		.amdhsa_exception_fp_ieee_inexact 0
		.amdhsa_exception_int_div_zero 0
	.end_amdhsa_kernel
	.section	.text._ZL16k_set_rows_quantIl10block_q4_0Li32ETnPFvPKfPT0_EXadL_ZL23quantize_f32_q4_0_blockS2_PS0_EEEvS2_PKT_S4_llllllllllllll15HIP_vector_typeIjLj3EESC_SC_SC_SC_,"axG",@progbits,_ZL16k_set_rows_quantIl10block_q4_0Li32ETnPFvPKfPT0_EXadL_ZL23quantize_f32_q4_0_blockS2_PS0_EEEvS2_PKT_S4_llllllllllllll15HIP_vector_typeIjLj3EESC_SC_SC_SC_,comdat
.Lfunc_end3:
	.size	_ZL16k_set_rows_quantIl10block_q4_0Li32ETnPFvPKfPT0_EXadL_ZL23quantize_f32_q4_0_blockS2_PS0_EEEvS2_PKT_S4_llllllllllllll15HIP_vector_typeIjLj3EESC_SC_SC_SC_, .Lfunc_end3-_ZL16k_set_rows_quantIl10block_q4_0Li32ETnPFvPKfPT0_EXadL_ZL23quantize_f32_q4_0_blockS2_PS0_EEEvS2_PKT_S4_llllllllllllll15HIP_vector_typeIjLj3EESC_SC_SC_SC_
                                        ; -- End function
	.set _ZL16k_set_rows_quantIl10block_q4_0Li32ETnPFvPKfPT0_EXadL_ZL23quantize_f32_q4_0_blockS2_PS0_EEEvS2_PKT_S4_llllllllllllll15HIP_vector_typeIjLj3EESC_SC_SC_SC_.num_vgpr, 51
	.set _ZL16k_set_rows_quantIl10block_q4_0Li32ETnPFvPKfPT0_EXadL_ZL23quantize_f32_q4_0_blockS2_PS0_EEEvS2_PKT_S4_llllllllllllll15HIP_vector_typeIjLj3EESC_SC_SC_SC_.num_agpr, 0
	.set _ZL16k_set_rows_quantIl10block_q4_0Li32ETnPFvPKfPT0_EXadL_ZL23quantize_f32_q4_0_blockS2_PS0_EEEvS2_PKT_S4_llllllllllllll15HIP_vector_typeIjLj3EESC_SC_SC_SC_.numbered_sgpr, 76
	.set _ZL16k_set_rows_quantIl10block_q4_0Li32ETnPFvPKfPT0_EXadL_ZL23quantize_f32_q4_0_blockS2_PS0_EEEvS2_PKT_S4_llllllllllllll15HIP_vector_typeIjLj3EESC_SC_SC_SC_.num_named_barrier, 0
	.set _ZL16k_set_rows_quantIl10block_q4_0Li32ETnPFvPKfPT0_EXadL_ZL23quantize_f32_q4_0_blockS2_PS0_EEEvS2_PKT_S4_llllllllllllll15HIP_vector_typeIjLj3EESC_SC_SC_SC_.private_seg_size, 0
	.set _ZL16k_set_rows_quantIl10block_q4_0Li32ETnPFvPKfPT0_EXadL_ZL23quantize_f32_q4_0_blockS2_PS0_EEEvS2_PKT_S4_llllllllllllll15HIP_vector_typeIjLj3EESC_SC_SC_SC_.uses_vcc, 1
	.set _ZL16k_set_rows_quantIl10block_q4_0Li32ETnPFvPKfPT0_EXadL_ZL23quantize_f32_q4_0_blockS2_PS0_EEEvS2_PKT_S4_llllllllllllll15HIP_vector_typeIjLj3EESC_SC_SC_SC_.uses_flat_scratch, 0
	.set _ZL16k_set_rows_quantIl10block_q4_0Li32ETnPFvPKfPT0_EXadL_ZL23quantize_f32_q4_0_blockS2_PS0_EEEvS2_PKT_S4_llllllllllllll15HIP_vector_typeIjLj3EESC_SC_SC_SC_.has_dyn_sized_stack, 0
	.set _ZL16k_set_rows_quantIl10block_q4_0Li32ETnPFvPKfPT0_EXadL_ZL23quantize_f32_q4_0_blockS2_PS0_EEEvS2_PKT_S4_llllllllllllll15HIP_vector_typeIjLj3EESC_SC_SC_SC_.has_recursion, 0
	.set _ZL16k_set_rows_quantIl10block_q4_0Li32ETnPFvPKfPT0_EXadL_ZL23quantize_f32_q4_0_blockS2_PS0_EEEvS2_PKT_S4_llllllllllllll15HIP_vector_typeIjLj3EESC_SC_SC_SC_.has_indirect_call, 0
	.section	.AMDGPU.csdata,"",@progbits
; Kernel info:
; codeLenInByte = 2872
; TotalNumSgprs: 80
; NumVgprs: 51
; ScratchSize: 0
; MemoryBound: 0
; FloatMode: 240
; IeeeMode: 1
; LDSByteSize: 0 bytes/workgroup (compile time only)
; SGPRBlocks: 9
; VGPRBlocks: 12
; NumSGPRsForWavesPerEU: 80
; NumVGPRsForWavesPerEU: 51
; Occupancy: 4
; WaveLimiterHint : 1
; COMPUTE_PGM_RSRC2:SCRATCH_EN: 0
; COMPUTE_PGM_RSRC2:USER_SGPR: 6
; COMPUTE_PGM_RSRC2:TRAP_HANDLER: 0
; COMPUTE_PGM_RSRC2:TGID_X_EN: 1
; COMPUTE_PGM_RSRC2:TGID_Y_EN: 0
; COMPUTE_PGM_RSRC2:TGID_Z_EN: 0
; COMPUTE_PGM_RSRC2:TIDIG_COMP_CNT: 0
	.section	.text._ZL16k_set_rows_quantIl10block_q4_1Li32ETnPFvPKfPT0_EXadL_ZL23quantize_f32_q4_1_blockS2_PS0_EEEvS2_PKT_S4_llllllllllllll15HIP_vector_typeIjLj3EESC_SC_SC_SC_,"axG",@progbits,_ZL16k_set_rows_quantIl10block_q4_1Li32ETnPFvPKfPT0_EXadL_ZL23quantize_f32_q4_1_blockS2_PS0_EEEvS2_PKT_S4_llllllllllllll15HIP_vector_typeIjLj3EESC_SC_SC_SC_,comdat
	.globl	_ZL16k_set_rows_quantIl10block_q4_1Li32ETnPFvPKfPT0_EXadL_ZL23quantize_f32_q4_1_blockS2_PS0_EEEvS2_PKT_S4_llllllllllllll15HIP_vector_typeIjLj3EESC_SC_SC_SC_ ; -- Begin function _ZL16k_set_rows_quantIl10block_q4_1Li32ETnPFvPKfPT0_EXadL_ZL23quantize_f32_q4_1_blockS2_PS0_EEEvS2_PKT_S4_llllllllllllll15HIP_vector_typeIjLj3EESC_SC_SC_SC_
	.p2align	8
	.type	_ZL16k_set_rows_quantIl10block_q4_1Li32ETnPFvPKfPT0_EXadL_ZL23quantize_f32_q4_1_blockS2_PS0_EEEvS2_PKT_S4_llllllllllllll15HIP_vector_typeIjLj3EESC_SC_SC_SC_,@function
_ZL16k_set_rows_quantIl10block_q4_1Li32ETnPFvPKfPT0_EXadL_ZL23quantize_f32_q4_1_blockS2_PS0_EEEvS2_PKT_S4_llllllllllllll15HIP_vector_typeIjLj3EESC_SC_SC_SC_: ; @_ZL16k_set_rows_quantIl10block_q4_1Li32ETnPFvPKfPT0_EXadL_ZL23quantize_f32_q4_1_blockS2_PS0_EEEvS2_PKT_S4_llllllllllllll15HIP_vector_typeIjLj3EESC_SC_SC_SC_
; %bb.0:
	s_load_dword s2, s[4:5], 0xd4
	s_load_dwordx2 s[0:1], s[4:5], 0x18
	v_mov_b32_e32 v1, 0
	v_mov_b32_e32 v2, s6
	s_waitcnt lgkmcnt(0)
	s_and_b32 s2, s2, 0xffff
	v_mad_u64_u32 v[2:3], s[2:3], s2, v2, v[0:1]
	v_cmp_gt_i64_e32 vcc, s[0:1], v[2:3]
	s_and_saveexec_b64 s[0:1], vcc
	s_cbranch_execz .LBB4_2
; %bb.1:
	s_load_dwordx8 s[24:31], s[4:5], 0x88
	v_lshlrev_b32_e32 v0, 5, v2
	s_load_dwordx16 s[8:23], s[4:5], 0x40
	s_load_dwordx4 s[0:3], s[4:5], 0xa8
	s_load_dwordx4 s[36:39], s[4:5], 0x0
	s_load_dwordx2 s[6:7], s[4:5], 0x10
	s_waitcnt lgkmcnt(0)
	v_mul_hi_u32 v2, s24, v0
	v_mov_b32_e32 v10, s37
	v_mov_b32_e32 v20, s39
	v_add_u32_e32 v2, v0, v2
	v_lshrrev_b32_e32 v2, s25, v2
	v_mul_hi_u32 v3, v2, s27
	v_mul_lo_u32 v8, v2, s26
	v_add_u32_e32 v3, v2, v3
	v_lshrrev_b32_e32 v3, s28, v3
	v_mul_lo_u32 v4, v3, s29
	v_mul_hi_u32 v5, v3, s30
	v_sub_u32_e32 v0, v0, v8
	v_sub_u32_e32 v18, v2, v4
	v_add_u32_e32 v4, v3, v5
	v_lshrrev_b32_e32 v31, s31, v4
	v_mad_u64_u32 v[4:5], s[24:25], s8, v18, 0
	v_mul_lo_u32 v6, v31, s0
	s_load_dword s0, s[4:5], 0xc0
	v_mov_b32_e32 v2, v5
	v_sub_u32_e32 v30, v3, v6
	v_mad_u64_u32 v[2:3], s[8:9], s9, v18, v[2:3]
	v_mad_u64_u32 v[6:7], s[8:9], s10, v30, 0
	v_mov_b32_e32 v5, v2
	v_lshlrev_b64 v[2:3], 2, v[4:5]
	v_mov_b32_e32 v4, v7
	v_mad_u64_u32 v[4:5], s[8:9], s11, v30, v[4:5]
	v_mad_u64_u32 v[8:9], s[8:9], s12, v31, 0
	v_mov_b32_e32 v7, v4
	v_add_co_u32_e32 v11, vcc, s36, v2
	v_mov_b32_e32 v4, v9
	v_mad_u64_u32 v[4:5], s[8:9], s13, v31, v[4:5]
	v_addc_co_u32_e32 v10, vcc, v10, v3, vcc
	v_lshlrev_b64 v[2:3], 2, v[6:7]
	v_mov_b32_e32 v9, v4
	v_add_co_u32_e32 v5, vcc, v11, v2
	v_addc_co_u32_e32 v6, vcc, v10, v3, vcc
	v_lshlrev_b64 v[2:3], 2, v[8:9]
	s_load_dwordx2 s[8:9], s[4:5], 0xb8
	v_add_co_u32_e32 v4, vcc, v5, v2
	v_addc_co_u32_e32 v5, vcc, v6, v3, vcc
	v_lshlrev_b64 v[2:3], 2, v[0:1]
	v_mad_u64_u32 v[8:9], s[10:11], s14, v18, 0
	v_add_co_u32_e32 v6, vcc, v4, v2
	v_addc_co_u32_e32 v7, vcc, v5, v3, vcc
	global_load_dwordx4 v[41:44], v[6:7], off
	global_load_dwordx4 v[14:17], v[6:7], off offset:16
	global_load_dwordx4 v[10:13], v[6:7], off offset:32
	s_waitcnt lgkmcnt(0)
	v_mul_hi_u32 v2, v31, s8
	global_load_dwordx4 v[26:29], v[6:7], off offset:64
	global_load_dwordx4 v[22:25], v[6:7], off offset:80
	s_mov_b32 s8, 0x41700000
	v_add_u32_e32 v21, v31, v2
	global_load_dwordx4 v[2:5], v[6:7], off offset:48
	v_lshrrev_b32_e32 v0, 5, v0
	s_waitcnt vmcnt(3)
	v_mad_u64_u32 v[18:19], s[10:11], s15, v18, v[9:10]
	v_lshrrev_b32_e32 v9, s9, v21
	v_mul_hi_u32 v19, v30, s1
	v_mul_lo_u32 v21, v9, s0
	v_mov_b32_e32 v9, v18
	v_lshlrev_b64 v[8:9], 3, v[8:9]
	v_add_u32_e32 v18, v30, v19
	v_sub_u32_e32 v19, v31, v21
	v_lshrrev_b32_e32 v18, s2, v18
	v_mad_u64_u32 v[32:33], s[0:1], s18, v19, 0
	v_mul_lo_u32 v18, v18, s3
	v_add_co_u32_e32 v37, vcc, s38, v8
	v_mov_b32_e32 v8, v33
	v_addc_co_u32_e32 v38, vcc, v20, v9, vcc
	v_sub_u32_e32 v36, v30, v18
	v_mad_u64_u32 v[8:9], s[0:1], s19, v19, v[8:9]
	global_load_dwordx4 v[18:21], v[6:7], off offset:96
	v_mad_u64_u32 v[34:35], s[0:1], s16, v36, 0
	v_mov_b32_e32 v33, v8
	v_lshlrev_b64 v[32:33], 3, v[32:33]
	v_mov_b32_e32 v8, v35
	v_mad_u64_u32 v[35:36], s[0:1], s17, v36, v[8:9]
	global_load_dwordx4 v[6:9], v[6:7], off offset:112
	v_lshlrev_b64 v[34:35], 3, v[34:35]
	v_add_co_u32_e32 v34, vcc, v37, v34
	v_addc_co_u32_e32 v35, vcc, v38, v35, vcc
	v_add_co_u32_e32 v32, vcc, v34, v32
	v_max_f32_e32 v34, v41, v41
	v_addc_co_u32_e32 v33, vcc, v35, v33, vcc
	v_min_f32_e32 v35, 0x7f7fffff, v34
	v_max_f32_e32 v34, 0xff7fffff, v34
	v_cmp_lt_f32_e32 vcc, v42, v35
	v_cndmask_b32_e32 v35, v35, v42, vcc
	v_cmp_gt_f32_e32 vcc, v42, v34
	v_cndmask_b32_e32 v34, v34, v42, vcc
	v_cmp_lt_f32_e32 vcc, v43, v35
	v_cndmask_b32_e32 v35, v35, v43, vcc
	v_cmp_gt_f32_e32 vcc, v43, v34
	v_cndmask_b32_e32 v34, v34, v43, vcc
	;; [unrolled: 4-line block ×3, first 2 shown]
	v_cmp_lt_f32_e32 vcc, v14, v35
	v_cndmask_b32_e32 v35, v35, v14, vcc
	v_cmp_lt_f32_e32 vcc, v15, v35
	v_cndmask_b32_e32 v35, v35, v15, vcc
	;; [unrolled: 2-line block ×8, first 2 shown]
	s_waitcnt vmcnt(2)
	v_cmp_lt_f32_e32 vcc, v2, v35
	v_cndmask_b32_e32 v35, v35, v2, vcc
	v_cmp_lt_f32_e32 vcc, v3, v35
	v_cndmask_b32_e32 v35, v35, v3, vcc
	;; [unrolled: 2-line block ×11, first 2 shown]
	global_load_dwordx2 v[45:46], v[32:33], off
	v_cmp_lt_f32_e32 vcc, v25, v35
	v_cndmask_b32_e32 v35, v35, v25, vcc
	s_waitcnt vmcnt(2)
	v_cmp_lt_f32_e32 vcc, v18, v35
	v_cndmask_b32_e32 v35, v35, v18, vcc
	v_cmp_lt_f32_e32 vcc, v19, v35
	v_cndmask_b32_e32 v35, v35, v19, vcc
	;; [unrolled: 2-line block ×4, first 2 shown]
	s_waitcnt vmcnt(1)
	v_cmp_lt_f32_e32 vcc, v6, v35
	v_cndmask_b32_e32 v35, v35, v6, vcc
	v_cmp_lt_f32_e32 vcc, v7, v35
	v_cndmask_b32_e32 v35, v35, v7, vcc
	;; [unrolled: 2-line block ×4, first 2 shown]
	v_cmp_gt_f32_e32 vcc, v14, v34
	v_cndmask_b32_e32 v33, v34, v14, vcc
	v_cmp_gt_f32_e32 vcc, v15, v33
	v_cndmask_b32_e32 v33, v33, v15, vcc
	;; [unrolled: 2-line block ×16, first 2 shown]
	v_cmp_gt_f32_e32 vcc, v22, v33
	v_sub_f32_e32 v38, v14, v37
	v_cndmask_b32_e32 v14, v33, v22, vcc
	v_cmp_gt_f32_e32 vcc, v23, v14
	v_cndmask_b32_e32 v14, v14, v23, vcc
	v_cmp_gt_f32_e32 vcc, v24, v14
	v_cndmask_b32_e32 v14, v14, v24, vcc
	v_cmp_gt_f32_e32 vcc, v25, v14
	v_cndmask_b32_e32 v14, v14, v25, vcc
	v_cmp_gt_f32_e32 vcc, v18, v14
	v_sub_f32_e32 v40, v27, v37
	v_sub_f32_e32 v27, v23, v37
	;; [unrolled: 1-line block ×3, first 2 shown]
	v_cndmask_b32_e32 v10, v14, v18, vcc
	v_cmp_gt_f32_e32 vcc, v19, v10
	v_cndmask_b32_e32 v10, v10, v19, vcc
	v_cmp_gt_f32_e32 vcc, v20, v10
	;; [unrolled: 2-line block ×7, first 2 shown]
	v_cndmask_b32_e32 v14, v14, v9, vcc
	v_sub_f32_e32 v10, v21, v37
	v_sub_f32_e32 v21, v14, v37
	;; [unrolled: 1-line block ×6, first 2 shown]
	v_div_scale_f32 v20, s[0:1], s8, s8, v21
	v_sub_f32_e32 v35, v43, v37
	v_sub_f32_e32 v43, v26, v37
	v_sub_f32_e32 v26, v17, v37
	v_sub_f32_e32 v33, v24, v37
	v_sub_f32_e32 v24, v18, v37
	s_waitcnt vmcnt(0)
	v_mad_u64_u32 v[17:18], s[0:1], v45, s20, 0
	v_sub_f32_e32 v34, v29, v37
	v_sub_f32_e32 v29, v15, v37
	;; [unrolled: 1-line block ×7, first 2 shown]
	v_mul_lo_u32 v19, v46, s20
	v_mul_lo_u32 v14, v45, s21
	s_load_dwordx2 s[0:1], s[4:5], 0x80
	v_div_scale_f32 v25, vcc, v21, s8, v21
	v_add3_u32 v18, v18, v14, v19
	v_sub_f32_e32 v41, v41, v37
	s_waitcnt lgkmcnt(0)
	v_mad_u64_u32 v[17:18], s[2:3], s0, v31, v[17:18]
	s_mov_b32 s2, 0xcccccccc
	v_sub_f32_e32 v32, v44, v37
	v_mov_b32_e32 v14, v18
	v_mad_u64_u32 v[18:19], s[0:1], s1, v31, v[14:15]
	v_rcp_f32_e32 v14, v20
	v_sub_f32_e32 v12, v12, v37
	v_mad_u64_u32 v[17:18], s[0:1], s22, v30, v[17:18]
	v_fma_f32 v19, -v20, v14, 1.0
	v_fmac_f32_e32 v14, v19, v14
	v_mul_f32_e32 v19, v25, v14
	v_fma_f32 v31, -v20, v19, v25
	v_fmac_f32_e32 v19, v31, v14
	v_fma_f32 v20, -v20, v19, v25
	v_div_fmas_f32 v25, v20, v14, v19
	v_mov_b32_e32 v14, v18
	v_mad_u64_u32 v[18:19], s[0:1], s23, v30, v[14:15]
	s_mov_b32 s0, 0xcccccccd
	v_mul_hi_u32 v19, v17, s0
	v_mov_b32_e32 v20, v1
	v_mov_b32_e32 v31, v1
	v_mad_u64_u32 v[19:20], s[0:1], v18, s0, v[19:20]
	v_mov_b32_e32 v30, v19
	v_mad_u64_u32 v[30:31], s[0:1], v17, s2, v[30:31]
	v_div_fixup_f32 v25, v25, s8, v21
	v_div_scale_f32 v14, s[0:1], v25, v25, 1.0
	v_div_scale_f32 v17, vcc, 1.0, v25, 1.0
	v_add_co_u32_e64 v1, s[0:1], v20, v31
	v_rcp_f32_e32 v19, v14
	v_fma_f32 v20, -v14, v19, 1.0
	v_fmac_f32_e32 v19, v20, v19
	v_mul_f32_e32 v21, v17, v19
	v_fma_f32 v20, -v14, v21, v17
	v_fmac_f32_e32 v21, v20, v19
	v_fma_f32 v14, -v14, v21, v17
	v_div_fmas_f32 v30, v14, v19, v21
	v_sub_f32_e32 v20, v2, v37
	v_addc_co_u32_e64 v2, s[0:1], 0, 0, s[0:1]
	v_mad_u64_u32 v[1:2], s[0:1], v18, s2, v[1:2]
	v_sub_f32_e32 v17, v3, v37
	v_sub_f32_e32 v3, v5, v37
	v_alignbit_b32 v1, v2, v1, 4
	v_mad_u64_u32 v[18:19], s[0:1], v1, 20, s[6:7]
	v_cmp_neq_f32_e32 vcc, 0, v25
	v_sub_f32_e32 v14, v4, v37
	v_sub_f32_e32 v4, v9, v37
	;; [unrolled: 1-line block ×4, first 2 shown]
	v_div_fixup_f32 v5, v30, v25, 1.0
	v_cndmask_b32_e32 v5, 0, v5, vcc
	v_fma_f32 v9, v43, v5, 0.5
	v_sub_f32_e32 v7, v8, v37
	v_fma_f32 v8, v41, v5, 0.5
	v_cvt_i32_f32_e32 v9, v9
	v_mov_b32_e32 v1, v19
	v_cvt_i32_f32_e32 v19, v8
	v_lshrrev_b32_e32 v2, 4, v2
	v_cvt_f64_i32_e32 v[8:9], v9
	v_mad_u64_u32 v[1:2], s[0:1], v2, 20, v[1:2]
	v_cvt_f64_i32_e32 v[30:31], v19
	s_mov_b32 s0, 0
	s_mov_b32 s1, 0x402e0000
	v_min_f64 v[8:9], v[8:9], s[0:1]
	v_min_f64 v[30:31], v[30:31], s[0:1]
	v_mov_b32_e32 v19, v1
	v_cvt_f16_f32_e32 v2, v25
	v_cvt_f16_f32_e32 v25, v37
	v_mad_u64_u32 v[0:1], s[2:3], v0, 20, v[18:19]
	v_fma_f32 v28, v28, v5, 0.5
	v_cvt_i32_f64_e32 v8, v[8:9]
	v_cvt_i32_f64_e32 v9, v[30:31]
	v_pack_b32_f16 v2, v2, v25
	global_store_dword v[0:1], v2, off
	v_lshlrev_b16_e32 v2, 4, v8
	v_or_b32_e32 v2, v2, v9
	v_fma_f32 v9, v35, v5, 0.5
	v_cvt_i32_f32_e32 v18, v9
	v_fma_f32 v9, v42, v5, 0.5
	v_cvt_i32_f32_e32 v25, v9
	v_fma_f32 v8, v36, v5, 0.5
	v_cvt_f64_i32_e32 v[18:19], v18
	v_fma_f32 v9, v40, v5, 0.5
	v_cvt_f64_i32_e32 v[30:31], v25
	v_cvt_i32_f32_e32 v8, v8
	v_min_f64 v[18:19], v[18:19], s[0:1]
	v_cvt_i32_f32_e32 v35, v9
	v_fma_f32 v25, v32, v5, 0.5
	v_min_f64 v[30:31], v[30:31], s[0:1]
	v_cvt_i32_f32_e32 v25, v25
	v_cvt_f64_i32_e32 v[8:9], v8
	v_cvt_f64_i32_e32 v[35:36], v35
	v_fma_f32 v32, v38, v5, 0.5
	v_cvt_i32_f64_e32 v40, v[18:19]
	v_cvt_f64_i32_e32 v[18:19], v25
	v_min_f64 v[8:9], v[8:9], s[0:1]
	v_min_f64 v[35:36], v[35:36], s[0:1]
	v_cvt_i32_f32_e32 v32, v32
	v_cvt_i32_f64_e32 v25, v[30:31]
	v_min_f64 v[30:31], v[18:19], s[0:1]
	v_fma_f32 v18, v39, v5, 0.5
	v_cvt_f64_i32_e32 v[37:38], v32
	v_cvt_i32_f32_e32 v19, v18
	v_fma_f32 v18, v34, v5, 0.5
	v_cvt_i32_f64_e32 v8, v[8:9]
	v_cvt_i32_f64_e32 v9, v[35:36]
	v_min_f64 v[35:36], v[37:38], s[0:1]
	v_cvt_i32_f32_e32 v32, v18
	v_cvt_f64_i32_e32 v[37:38], v19
	v_lshlrev_b16_e32 v18, 4, v25
	v_or_b32_e32 v18, v18, v40
	v_cvt_f64_i32_e32 v[39:40], v32
	v_cvt_i32_f64_e32 v19, v[30:31]
	v_min_f64 v[30:31], v[37:38], s[0:1]
	v_fma_f32 v25, v29, v5, 0.5
	v_cvt_i32_f64_e32 v36, v[35:36]
	v_min_f64 v[34:35], v[39:40], s[0:1]
	v_cvt_i32_f32_e32 v25, v25
	v_cvt_i32_f32_e32 v32, v28
	v_fma_f32 v28, v33, v5, 0.5
	v_cvt_i32_f32_e32 v33, v28
	v_cvt_f64_i32_e32 v[28:29], v25
	v_cvt_i32_f64_e32 v37, v[30:31]
	v_cvt_f64_i32_e32 v[30:31], v32
	v_fma_f32 v27, v27, v5, 0.5
	v_cvt_f64_i32_e32 v[32:33], v33
	v_min_f64 v[28:29], v[28:29], s[0:1]
	v_cvt_i32_f64_e32 v25, v[34:35]
	v_min_f64 v[30:31], v[30:31], s[0:1]
	v_cvt_i32_f32_e32 v34, v27
	v_min_f64 v[32:33], v[32:33], s[0:1]
	v_fma_f32 v23, v23, v5, 0.5
	v_cvt_i32_f32_e32 v23, v23
	v_cvt_f64_i32_e32 v[34:35], v34
	v_cvt_i32_f64_e32 v28, v[28:29]
	v_fma_f32 v26, v26, v5, 0.5
	v_cvt_i32_f64_e32 v39, v[30:31]
	v_min_f64 v[29:30], v[34:35], s[0:1]
	v_cvt_i32_f32_e32 v26, v26
	v_cvt_i32_f64_e32 v40, v[32:33]
	v_fma_f32 v24, v24, v5, 0.5
	v_cvt_f64_i32_e32 v[33:34], v23
	v_cvt_i32_f32_e32 v24, v24
	v_fma_f32 v22, v22, v5, 0.5
	v_lshlrev_b16_e32 v27, 4, v37
	v_cvt_f64_i32_e32 v[31:32], v26
	v_cvt_i32_f32_e32 v22, v22
	v_cvt_i32_f64_e32 v23, v[29:30]
	v_min_f64 v[29:30], v[33:34], s[0:1]
	v_or_b32_e32 v27, v27, v36
	v_cvt_f64_i32_e32 v[35:36], v24
	v_fma_f32 v15, v15, v5, 0.5
	v_fma_f32 v12, v12, v5, 0.5
	v_min_f64 v[31:32], v[31:32], s[0:1]
	v_cvt_f64_i32_e32 v[37:38], v22
	v_cvt_i32_f32_e32 v26, v15
	v_cvt_i32_f32_e32 v12, v12
	v_min_f64 v[33:34], v[35:36], s[0:1]
	v_fma_f32 v16, v16, v5, 0.5
	v_fma_f32 v13, v13, v5, 0.5
	v_min_f64 v[35:36], v[37:38], s[0:1]
	v_cvt_i32_f64_e32 v37, v[29:30]
	v_cvt_f64_i32_e32 v[29:30], v26
	v_cvt_i32_f32_e32 v16, v16
	v_cvt_i32_f32_e32 v26, v13
	v_cvt_f64_i32_e32 v[12:13], v12
	v_cvt_i32_f64_e32 v24, v[31:32]
	v_cvt_f64_i32_e32 v[31:32], v16
	v_cvt_i32_f64_e32 v38, v[33:34]
	v_min_f64 v[12:13], v[12:13], s[0:1]
	v_min_f64 v[29:30], v[29:30], s[0:1]
	v_fma_f32 v11, v11, v5, 0.5
	v_cvt_f64_i32_e32 v[33:34], v26
	v_min_f64 v[31:32], v[31:32], s[0:1]
	v_cvt_i32_f32_e32 v11, v11
	v_lshlrev_b16_e32 v16, 4, v38
	v_or_b32_e32 v26, v16, v37
	v_fma_f32 v16, v20, v5, 0.5
	v_cvt_i32_f32_e32 v16, v16
	v_min_f64 v[33:34], v[33:34], s[0:1]
	v_cvt_i32_f64_e32 v13, v[12:13]
	v_cvt_f64_i32_e32 v[11:12], v11
	v_cvt_i32_f64_e32 v15, v[35:36]
	v_cvt_i32_f64_e32 v35, v[29:30]
	v_cvt_f64_i32_e32 v[29:30], v16
	v_fma_f32 v16, v21, v5, 0.5
	v_cvt_i32_f64_e32 v20, v[31:32]
	v_min_f64 v[11:12], v[11:12], s[0:1]
	v_cvt_i32_f32_e32 v16, v16
	v_fma_f32 v10, v10, v5, 0.5
	v_cvt_i32_f32_e32 v10, v10
	v_cvt_i32_f64_e32 v33, v[33:34]
	v_lshlrev_b16_e32 v34, 4, v20
	v_min_f64 v[20:21], v[29:30], s[0:1]
	v_cvt_f64_i32_e32 v[29:30], v16
	v_cvt_f64_i32_e32 v[31:32], v10
	v_cvt_i32_f64_e32 v36, v[11:12]
	v_fma_f32 v16, v17, v5, 0.5
	v_min_f64 v[10:11], v[29:30], s[0:1]
	v_or_b32_e32 v34, v34, v13
	v_min_f64 v[12:13], v[31:32], s[0:1]
	v_cvt_i32_f32_e32 v16, v16
	v_fma_f32 v14, v14, v5, 0.5
	v_cvt_i32_f32_e32 v14, v14
	v_fma_f32 v7, v7, v5, 0.5
	v_cvt_f64_i32_e32 v[16:17], v16
	v_cvt_i32_f32_e32 v7, v7
	v_fma_f32 v6, v6, v5, 0.5
	v_cvt_i32_f64_e32 v30, v[10:11]
	v_cvt_f64_i32_e32 v[10:11], v14
	v_cvt_i32_f32_e32 v14, v6
	v_cvt_i32_f64_e32 v31, v[12:13]
	v_min_f64 v[12:13], v[16:17], s[0:1]
	v_cvt_f64_i32_e32 v[6:7], v7
	v_fma_f32 v16, v3, v5, 0.5
	v_fma_f32 v5, v4, v5, 0.5
	v_cvt_i32_f64_e32 v29, v[20:21]
	v_cvt_f64_i32_e32 v[3:4], v14
	v_cvt_i32_f32_e32 v14, v16
	v_cvt_i32_f32_e32 v20, v5
	v_min_f64 v[5:6], v[6:7], s[0:1]
	v_min_f64 v[10:11], v[10:11], s[0:1]
	v_cvt_f64_i32_e32 v[16:17], v14
	v_cvt_f64_i32_e32 v[20:21], v20
	v_min_f64 v[3:4], v[3:4], s[0:1]
	v_lshlrev_b16_e32 v7, 4, v30
	v_min_f64 v[16:17], v[16:17], s[0:1]
	v_min_f64 v[20:21], v[20:21], s[0:1]
	v_cvt_i32_f64_e32 v5, v[5:6]
	v_cvt_i32_f64_e32 v6, v[10:11]
	v_cvt_i32_f64_e32 v10, v[12:13]
	v_or_b32_e32 v7, v7, v29
	v_cvt_i32_f64_e32 v3, v[3:4]
	v_lshlrev_b16_e32 v4, 4, v5
	v_or_b32_e32 v4, v4, v6
	v_cvt_i32_f64_e32 v5, v[16:17]
	v_cvt_i32_f64_e32 v6, v[20:21]
	v_lshlrev_b16_e32 v10, 8, v10
	v_lshlrev_b16_e32 v3, 12, v3
	;; [unrolled: 1-line block ×4, first 2 shown]
	v_or_b32_e32 v5, v6, v5
	v_or_b32_sdwa v4, v4, v5 dst_sel:WORD_1 dst_unused:UNUSED_PAD src0_sel:BYTE_0 src1_sel:DWORD
	v_lshlrev_b16_e32 v5, 8, v35
	v_lshlrev_b16_e32 v6, 12, v33
	v_or_b32_e32 v3, v3, v10
	v_or_b32_e32 v5, v6, v5
	v_or_b32_sdwa v3, v7, v3 dst_sel:DWORD dst_unused:UNUSED_PAD src0_sel:BYTE_0 src1_sel:DWORD
	v_or_b32_sdwa v6, v26, v5 dst_sel:DWORD dst_unused:UNUSED_PAD src0_sel:BYTE_0 src1_sel:DWORD
	v_lshlrev_b16_e32 v5, 8, v36
	v_lshlrev_b16_e32 v7, 12, v31
	v_or_b32_e32 v5, v7, v5
	v_or_b32_sdwa v7, v34, v5 dst_sel:WORD_1 dst_unused:UNUSED_PAD src0_sel:BYTE_0 src1_sel:DWORD
	v_or_b32_sdwa v5, v3, v4 dst_sel:DWORD dst_unused:UNUSED_PAD src0_sel:WORD_0 src1_sel:DWORD
	v_or_b32_sdwa v4, v6, v7 dst_sel:DWORD dst_unused:UNUSED_PAD src0_sel:WORD_0 src1_sel:DWORD
	v_lshlrev_b16_e32 v3, 8, v28
	v_lshlrev_b16_e32 v6, 12, v23
	;; [unrolled: 1-line block ×3, first 2 shown]
	v_or_b32_e32 v3, v6, v3
	v_lshlrev_b16_e32 v6, 8, v24
	v_lshlrev_b16_e32 v7, 12, v15
	v_or_b32_e32 v22, v22, v39
	v_or_b32_e32 v6, v7, v6
	v_or_b32_sdwa v3, v27, v3 dst_sel:DWORD dst_unused:UNUSED_PAD src0_sel:BYTE_0 src1_sel:DWORD
	v_or_b32_sdwa v6, v22, v6 dst_sel:WORD_1 dst_unused:UNUSED_PAD src0_sel:BYTE_0 src1_sel:DWORD
	v_or_b32_sdwa v3, v3, v6 dst_sel:DWORD dst_unused:UNUSED_PAD src0_sel:WORD_0 src1_sel:DWORD
	v_lshlrev_b16_e32 v6, 8, v8
	v_lshlrev_b16_e32 v7, 12, v9
	v_or_b32_e32 v6, v7, v6
	v_or_b32_sdwa v2, v2, v6 dst_sel:DWORD dst_unused:UNUSED_PAD src0_sel:BYTE_0 src1_sel:DWORD
	v_lshlrev_b16_e32 v6, 8, v19
	v_lshlrev_b16_e32 v7, 12, v25
	v_or_b32_e32 v6, v7, v6
	v_or_b32_sdwa v6, v18, v6 dst_sel:WORD_1 dst_unused:UNUSED_PAD src0_sel:BYTE_0 src1_sel:DWORD
	v_or_b32_sdwa v2, v2, v6 dst_sel:DWORD dst_unused:UNUSED_PAD src0_sel:WORD_0 src1_sel:DWORD
	global_store_dwordx4 v[0:1], v[2:5], off offset:4
.LBB4_2:
	s_endpgm
	.section	.rodata,"a",@progbits
	.p2align	6, 0x0
	.amdhsa_kernel _ZL16k_set_rows_quantIl10block_q4_1Li32ETnPFvPKfPT0_EXadL_ZL23quantize_f32_q4_1_blockS2_PS0_EEEvS2_PKT_S4_llllllllllllll15HIP_vector_typeIjLj3EESC_SC_SC_SC_
		.amdhsa_group_segment_fixed_size 0
		.amdhsa_private_segment_fixed_size 0
		.amdhsa_kernarg_size 456
		.amdhsa_user_sgpr_count 6
		.amdhsa_user_sgpr_private_segment_buffer 1
		.amdhsa_user_sgpr_dispatch_ptr 0
		.amdhsa_user_sgpr_queue_ptr 0
		.amdhsa_user_sgpr_kernarg_segment_ptr 1
		.amdhsa_user_sgpr_dispatch_id 0
		.amdhsa_user_sgpr_flat_scratch_init 0
		.amdhsa_user_sgpr_private_segment_size 0
		.amdhsa_uses_dynamic_stack 0
		.amdhsa_system_sgpr_private_segment_wavefront_offset 0
		.amdhsa_system_sgpr_workgroup_id_x 1
		.amdhsa_system_sgpr_workgroup_id_y 0
		.amdhsa_system_sgpr_workgroup_id_z 0
		.amdhsa_system_sgpr_workgroup_info 0
		.amdhsa_system_vgpr_workitem_id 0
		.amdhsa_next_free_vgpr 47
		.amdhsa_next_free_sgpr 40
		.amdhsa_reserve_vcc 1
		.amdhsa_reserve_flat_scratch 0
		.amdhsa_float_round_mode_32 0
		.amdhsa_float_round_mode_16_64 0
		.amdhsa_float_denorm_mode_32 3
		.amdhsa_float_denorm_mode_16_64 3
		.amdhsa_dx10_clamp 1
		.amdhsa_ieee_mode 1
		.amdhsa_fp16_overflow 0
		.amdhsa_exception_fp_ieee_invalid_op 0
		.amdhsa_exception_fp_denorm_src 0
		.amdhsa_exception_fp_ieee_div_zero 0
		.amdhsa_exception_fp_ieee_overflow 0
		.amdhsa_exception_fp_ieee_underflow 0
		.amdhsa_exception_fp_ieee_inexact 0
		.amdhsa_exception_int_div_zero 0
	.end_amdhsa_kernel
	.section	.text._ZL16k_set_rows_quantIl10block_q4_1Li32ETnPFvPKfPT0_EXadL_ZL23quantize_f32_q4_1_blockS2_PS0_EEEvS2_PKT_S4_llllllllllllll15HIP_vector_typeIjLj3EESC_SC_SC_SC_,"axG",@progbits,_ZL16k_set_rows_quantIl10block_q4_1Li32ETnPFvPKfPT0_EXadL_ZL23quantize_f32_q4_1_blockS2_PS0_EEEvS2_PKT_S4_llllllllllllll15HIP_vector_typeIjLj3EESC_SC_SC_SC_,comdat
.Lfunc_end4:
	.size	_ZL16k_set_rows_quantIl10block_q4_1Li32ETnPFvPKfPT0_EXadL_ZL23quantize_f32_q4_1_blockS2_PS0_EEEvS2_PKT_S4_llllllllllllll15HIP_vector_typeIjLj3EESC_SC_SC_SC_, .Lfunc_end4-_ZL16k_set_rows_quantIl10block_q4_1Li32ETnPFvPKfPT0_EXadL_ZL23quantize_f32_q4_1_blockS2_PS0_EEEvS2_PKT_S4_llllllllllllll15HIP_vector_typeIjLj3EESC_SC_SC_SC_
                                        ; -- End function
	.set _ZL16k_set_rows_quantIl10block_q4_1Li32ETnPFvPKfPT0_EXadL_ZL23quantize_f32_q4_1_blockS2_PS0_EEEvS2_PKT_S4_llllllllllllll15HIP_vector_typeIjLj3EESC_SC_SC_SC_.num_vgpr, 47
	.set _ZL16k_set_rows_quantIl10block_q4_1Li32ETnPFvPKfPT0_EXadL_ZL23quantize_f32_q4_1_blockS2_PS0_EEEvS2_PKT_S4_llllllllllllll15HIP_vector_typeIjLj3EESC_SC_SC_SC_.num_agpr, 0
	.set _ZL16k_set_rows_quantIl10block_q4_1Li32ETnPFvPKfPT0_EXadL_ZL23quantize_f32_q4_1_blockS2_PS0_EEEvS2_PKT_S4_llllllllllllll15HIP_vector_typeIjLj3EESC_SC_SC_SC_.numbered_sgpr, 40
	.set _ZL16k_set_rows_quantIl10block_q4_1Li32ETnPFvPKfPT0_EXadL_ZL23quantize_f32_q4_1_blockS2_PS0_EEEvS2_PKT_S4_llllllllllllll15HIP_vector_typeIjLj3EESC_SC_SC_SC_.num_named_barrier, 0
	.set _ZL16k_set_rows_quantIl10block_q4_1Li32ETnPFvPKfPT0_EXadL_ZL23quantize_f32_q4_1_blockS2_PS0_EEEvS2_PKT_S4_llllllllllllll15HIP_vector_typeIjLj3EESC_SC_SC_SC_.private_seg_size, 0
	.set _ZL16k_set_rows_quantIl10block_q4_1Li32ETnPFvPKfPT0_EXadL_ZL23quantize_f32_q4_1_blockS2_PS0_EEEvS2_PKT_S4_llllllllllllll15HIP_vector_typeIjLj3EESC_SC_SC_SC_.uses_vcc, 1
	.set _ZL16k_set_rows_quantIl10block_q4_1Li32ETnPFvPKfPT0_EXadL_ZL23quantize_f32_q4_1_blockS2_PS0_EEEvS2_PKT_S4_llllllllllllll15HIP_vector_typeIjLj3EESC_SC_SC_SC_.uses_flat_scratch, 0
	.set _ZL16k_set_rows_quantIl10block_q4_1Li32ETnPFvPKfPT0_EXadL_ZL23quantize_f32_q4_1_blockS2_PS0_EEEvS2_PKT_S4_llllllllllllll15HIP_vector_typeIjLj3EESC_SC_SC_SC_.has_dyn_sized_stack, 0
	.set _ZL16k_set_rows_quantIl10block_q4_1Li32ETnPFvPKfPT0_EXadL_ZL23quantize_f32_q4_1_blockS2_PS0_EEEvS2_PKT_S4_llllllllllllll15HIP_vector_typeIjLj3EESC_SC_SC_SC_.has_recursion, 0
	.set _ZL16k_set_rows_quantIl10block_q4_1Li32ETnPFvPKfPT0_EXadL_ZL23quantize_f32_q4_1_blockS2_PS0_EEEvS2_PKT_S4_llllllllllllll15HIP_vector_typeIjLj3EESC_SC_SC_SC_.has_indirect_call, 0
	.section	.AMDGPU.csdata,"",@progbits
; Kernel info:
; codeLenInByte = 2828
; TotalNumSgprs: 44
; NumVgprs: 47
; ScratchSize: 0
; MemoryBound: 0
; FloatMode: 240
; IeeeMode: 1
; LDSByteSize: 0 bytes/workgroup (compile time only)
; SGPRBlocks: 5
; VGPRBlocks: 11
; NumSGPRsForWavesPerEU: 44
; NumVGPRsForWavesPerEU: 47
; Occupancy: 5
; WaveLimiterHint : 1
; COMPUTE_PGM_RSRC2:SCRATCH_EN: 0
; COMPUTE_PGM_RSRC2:USER_SGPR: 6
; COMPUTE_PGM_RSRC2:TRAP_HANDLER: 0
; COMPUTE_PGM_RSRC2:TGID_X_EN: 1
; COMPUTE_PGM_RSRC2:TGID_Y_EN: 0
; COMPUTE_PGM_RSRC2:TGID_Z_EN: 0
; COMPUTE_PGM_RSRC2:TIDIG_COMP_CNT: 0
	.section	.text._ZL16k_set_rows_quantIl10block_q5_0Li32ETnPFvPKfPT0_EXadL_ZL23quantize_f32_q5_0_blockS2_PS0_EEEvS2_PKT_S4_llllllllllllll15HIP_vector_typeIjLj3EESC_SC_SC_SC_,"axG",@progbits,_ZL16k_set_rows_quantIl10block_q5_0Li32ETnPFvPKfPT0_EXadL_ZL23quantize_f32_q5_0_blockS2_PS0_EEEvS2_PKT_S4_llllllllllllll15HIP_vector_typeIjLj3EESC_SC_SC_SC_,comdat
	.globl	_ZL16k_set_rows_quantIl10block_q5_0Li32ETnPFvPKfPT0_EXadL_ZL23quantize_f32_q5_0_blockS2_PS0_EEEvS2_PKT_S4_llllllllllllll15HIP_vector_typeIjLj3EESC_SC_SC_SC_ ; -- Begin function _ZL16k_set_rows_quantIl10block_q5_0Li32ETnPFvPKfPT0_EXadL_ZL23quantize_f32_q5_0_blockS2_PS0_EEEvS2_PKT_S4_llllllllllllll15HIP_vector_typeIjLj3EESC_SC_SC_SC_
	.p2align	8
	.type	_ZL16k_set_rows_quantIl10block_q5_0Li32ETnPFvPKfPT0_EXadL_ZL23quantize_f32_q5_0_blockS2_PS0_EEEvS2_PKT_S4_llllllllllllll15HIP_vector_typeIjLj3EESC_SC_SC_SC_,@function
_ZL16k_set_rows_quantIl10block_q5_0Li32ETnPFvPKfPT0_EXadL_ZL23quantize_f32_q5_0_blockS2_PS0_EEEvS2_PKT_S4_llllllllllllll15HIP_vector_typeIjLj3EESC_SC_SC_SC_: ; @_ZL16k_set_rows_quantIl10block_q5_0Li32ETnPFvPKfPT0_EXadL_ZL23quantize_f32_q5_0_blockS2_PS0_EEEvS2_PKT_S4_llllllllllllll15HIP_vector_typeIjLj3EESC_SC_SC_SC_
; %bb.0:
	s_load_dword s2, s[4:5], 0xd4
	s_load_dwordx2 s[0:1], s[4:5], 0x18
	v_mov_b32_e32 v1, 0
	v_mov_b32_e32 v2, s6
	s_waitcnt lgkmcnt(0)
	s_and_b32 s2, s2, 0xffff
	v_mad_u64_u32 v[2:3], s[2:3], s2, v2, v[0:1]
	v_cmp_gt_i64_e32 vcc, s[0:1], v[2:3]
	s_and_saveexec_b64 s[0:1], vcc
	s_cbranch_execz .LBB5_4
; %bb.1:
	s_load_dwordx8 s[24:31], s[4:5], 0x88
	v_lshlrev_b32_e32 v5, 5, v2
	s_load_dwordx4 s[36:39], s[4:5], 0x0
	s_load_dwordx2 s[6:7], s[4:5], 0x10
	s_load_dwordx16 s[8:23], s[4:5], 0x40
	s_load_dwordx4 s[0:3], s[4:5], 0xa8
	s_waitcnt lgkmcnt(0)
	v_mul_hi_u32 v0, s24, v5
	v_mov_b32_e32 v10, s37
	v_add_u32_e32 v0, v5, v0
	v_lshrrev_b32_e32 v0, s25, v0
	v_mul_hi_u32 v2, v0, s27
	v_mul_lo_u32 v8, v0, s26
	v_add_u32_e32 v2, v0, v2
	v_lshrrev_b32_e32 v4, s28, v2
	v_mul_lo_u32 v2, v4, s29
	v_mul_hi_u32 v3, v4, s30
	v_sub_u32_e32 v14, v0, v2
	v_add_u32_e32 v2, v4, v3
	v_lshrrev_b32_e32 v12, s31, v2
	v_mad_u64_u32 v[2:3], s[24:25], s8, v14, 0
	v_mul_lo_u32 v6, v12, s0
	v_mov_b32_e32 v0, v3
	v_sub_u32_e32 v13, v4, v6
	v_mad_u64_u32 v[3:4], s[8:9], s9, v14, v[0:1]
	v_mad_u64_u32 v[6:7], s[8:9], s10, v13, 0
	v_sub_u32_e32 v0, v5, v8
	v_lshlrev_b64 v[4:5], 2, v[2:3]
	v_mov_b32_e32 v2, v7
	v_mad_u64_u32 v[2:3], s[8:9], s11, v13, v[2:3]
	v_mad_u64_u32 v[8:9], s[8:9], s12, v12, 0
	v_mov_b32_e32 v7, v2
	v_add_co_u32_e32 v11, vcc, s36, v4
	v_mov_b32_e32 v2, v9
	v_mad_u64_u32 v[2:3], s[8:9], s13, v12, v[2:3]
	v_lshlrev_b64 v[6:7], 2, v[6:7]
	v_addc_co_u32_e32 v10, vcc, v10, v5, vcc
	v_mov_b32_e32 v9, v2
	v_add_co_u32_e32 v3, vcc, v11, v6
	v_lshlrev_b64 v[8:9], 2, v[8:9]
	v_addc_co_u32_e32 v10, vcc, v10, v7, vcc
	v_add_co_u32_e32 v2, vcc, v3, v8
	v_addc_co_u32_e32 v3, vcc, v10, v9, vcc
	v_lshlrev_b64 v[10:11], 2, v[0:1]
	v_lshrrev_b32_e32 v0, 5, v0
	v_add_co_u32_e32 v2, vcc, v2, v10
	v_addc_co_u32_e32 v3, vcc, v3, v11, vcc
	global_load_dwordx4 v[15:18], v[2:3], off
	v_mul_lo_u32 v0, v0, 22
	s_waitcnt vmcnt(0)
	v_cmp_lg_f32_e32 vcc, 0, v15
	v_cndmask_b32_e32 v19, 0, v15, vcc
	v_cndmask_b32_e64 v15, 0, |v15|, vcc
	v_cmp_lt_f32_e64 vcc, v15, |v16|
	v_cndmask_b32_e64 v15, v15, |v16|, vcc
	v_cndmask_b32_e32 v19, v19, v16, vcc
	v_cmp_lt_f32_e64 vcc, v15, |v17|
	v_cndmask_b32_e64 v15, v15, |v17|, vcc
	v_cndmask_b32_e32 v16, v19, v17, vcc
	v_cmp_lt_f32_e64 vcc, v15, |v18|
	v_cndmask_b32_e32 v19, v16, v18, vcc
	v_cndmask_b32_e64 v20, v15, |v18|, vcc
	global_load_dwordx4 v[15:18], v[2:3], off offset:16
	s_waitcnt vmcnt(0)
	v_cmp_lt_f32_e64 vcc, v20, |v15|
	v_cndmask_b32_e32 v19, v19, v15, vcc
	v_cndmask_b32_e64 v15, v20, |v15|, vcc
	v_cmp_lt_f32_e64 vcc, v15, |v16|
	v_cndmask_b32_e64 v15, v15, |v16|, vcc
	v_cndmask_b32_e32 v19, v19, v16, vcc
	v_cmp_lt_f32_e64 vcc, v15, |v17|
	v_cndmask_b32_e64 v15, v15, |v17|, vcc
	v_cndmask_b32_e32 v16, v19, v17, vcc
	v_cmp_lt_f32_e64 vcc, v15, |v18|
	v_cndmask_b32_e32 v19, v16, v18, vcc
	v_cndmask_b32_e64 v20, v15, |v18|, vcc
	global_load_dwordx4 v[15:18], v[2:3], off offset:32
	s_waitcnt vmcnt(0)
	v_cmp_lt_f32_e64 vcc, v20, |v15|
	;; [unrolled: 14-line block ×6, first 2 shown]
	v_cndmask_b32_e32 v19, v19, v15, vcc
	v_cndmask_b32_e64 v15, v20, |v15|, vcc
	v_cmp_lt_f32_e64 vcc, v15, |v16|
	v_cndmask_b32_e64 v15, v15, |v16|, vcc
	v_cndmask_b32_e32 v19, v19, v16, vcc
	v_cmp_lt_f32_e64 vcc, v15, |v17|
	v_cndmask_b32_e64 v15, v15, |v17|, vcc
	v_cndmask_b32_e32 v16, v19, v17, vcc
	v_cmp_lt_f32_e64 vcc, v15, |v18|
	v_cndmask_b32_e32 v20, v16, v18, vcc
	v_cndmask_b32_e64 v21, v15, |v18|, vcc
	v_mad_u64_u32 v[15:16], s[8:9], s14, v14, 0
	v_mad_u64_u32 v[16:17], s[8:9], s15, v14, v[16:17]
	v_mov_b32_e32 v17, s39
	v_lshlrev_b64 v[14:15], 3, v[15:16]
	v_add_co_u32_e32 v18, vcc, s38, v14
	v_mul_hi_u32 v14, v13, s1
	v_addc_co_u32_e32 v17, vcc, v17, v15, vcc
	v_add_u32_e32 v14, v13, v14
	v_lshrrev_b32_e32 v14, s2, v14
	v_mul_lo_u32 v14, v14, s3
	v_sub_u32_e32 v16, v13, v14
	v_mad_u64_u32 v[14:15], s[0:1], s16, v16, 0
	v_mad_u64_u32 v[15:16], s[0:1], s17, v16, v[15:16]
	s_load_dwordx2 s[0:1], s[4:5], 0xb8
	v_lshlrev_b64 v[14:15], 3, v[14:15]
	v_add_co_u32_e32 v18, vcc, v18, v14
	s_waitcnt lgkmcnt(0)
	v_mul_hi_u32 v14, v12, s0
	s_load_dword s0, s[4:5], 0xc0
	v_addc_co_u32_e32 v17, vcc, v17, v15, vcc
	v_add_u32_e32 v14, v12, v14
	v_lshrrev_b32_e32 v14, s1, v14
	s_waitcnt lgkmcnt(0)
	v_mul_lo_u32 v14, v14, s0
	v_sub_u32_e32 v16, v12, v14
	v_mad_u64_u32 v[14:15], s[0:1], s18, v16, 0
	v_mad_u64_u32 v[15:16], s[0:1], s19, v16, v[15:16]
	v_lshlrev_b64 v[14:15], 3, v[14:15]
	v_add_co_u32_e32 v14, vcc, v18, v14
	v_addc_co_u32_e32 v15, vcc, v17, v15, vcc
	global_load_dwordx2 v[14:15], v[14:15], off
	s_waitcnt vmcnt(0)
	v_mul_lo_u32 v16, v15, s20
	v_mul_lo_u32 v17, v14, s21
	v_mad_u64_u32 v[14:15], s[0:1], v14, s20, 0
	s_load_dwordx2 s[0:1], s[4:5], 0x80
	s_mov_b32 s4, 0x2e8ba2e8
	v_add3_u32 v15, v15, v17, v16
	s_waitcnt lgkmcnt(0)
	v_mad_u64_u32 v[18:19], s[2:3], s0, v12, v[14:15]
	v_mov_b32_e32 v14, v19
	v_mad_u64_u32 v[14:15], s[0:1], s1, v12, v[14:15]
	v_mov_b32_e32 v19, v14
	global_load_dwordx4 v[14:17], v[2:3], off offset:112
	s_waitcnt vmcnt(0)
	v_cmp_lt_f32_e64 vcc, v21, |v14|
	v_cndmask_b32_e32 v12, v20, v14, vcc
	v_cndmask_b32_e64 v14, v21, |v14|, vcc
	v_cmp_lt_f32_e64 vcc, v14, |v15|
	v_cndmask_b32_e64 v14, v14, |v15|, vcc
	v_cndmask_b32_e32 v12, v12, v15, vcc
	v_cmp_lt_f32_e64 vcc, v14, |v16|
	v_cndmask_b32_e64 v14, v14, |v16|, vcc
	v_cndmask_b32_e32 v12, v12, v16, vcc
	v_cmp_lt_f32_e64 vcc, v14, |v17|
	v_mad_u64_u32 v[14:15], s[0:1], s22, v13, v[18:19]
	v_cndmask_b32_e32 v19, v12, v17, vcc
	v_mov_b32_e32 v16, v1
	v_mov_b32_e32 v12, v15
	v_mad_u64_u32 v[12:13], s[0:1], s23, v13, v[12:13]
	s_mov_b32 s0, 0xba2e8ba3
	v_mul_hi_u32 v15, v14, s0
	v_mov_b32_e32 v18, v1
	v_mad_u64_u32 v[15:16], s[0:1], v12, s0, v[15:16]
	v_mov_b32_e32 v17, v15
	v_mad_u64_u32 v[13:14], s[0:1], v14, s4, v[17:18]
	v_add_co_u32_e32 v13, vcc, v16, v14
	v_mul_f32_e32 v16, 0xbd800000, v19
	v_div_scale_f32 v15, s[0:1], v16, v16, 1.0
	v_div_scale_f32 v17, s[0:1], 1.0, v16, 1.0
	v_addc_co_u32_e64 v14, s[2:3], 0, 0, vcc
	v_mad_u64_u32 v[12:13], s[2:3], v12, s4, v[13:14]
	s_mov_b64 vcc, s[0:1]
	s_mov_b32 s4, 0
	s_mov_b32 s5, 0x403f0000
	v_rcp_f32_e32 v14, v15
	v_fma_f32 v18, -v15, v14, 1.0
	v_fmac_f32_e32 v14, v18, v14
	v_mul_f32_e32 v18, v17, v14
	v_fma_f32 v20, -v15, v18, v17
	v_fmac_f32_e32 v18, v20, v14
	v_fma_f32 v15, -v15, v18, v17
	v_div_fmas_f32 v17, v15, v14, v18
	v_alignbit_b32 v18, v13, v12, 2
	v_lshrrev_b32_e32 v12, 2, v13
	v_mad_u64_u32 v[14:15], s[0:1], v18, 22, s[6:7]
	v_mul_lo_u32 v20, v12, 22
	s_mov_b32 s0, 0xbd800000
	v_add_co_u32_e32 v12, vcc, v14, v0
	v_add_u32_e32 v13, v20, v15
	v_mad_u64_u32 v[14:15], s[2:3], v18, 22, v[0:1]
	v_addc_co_u32_e32 v13, vcc, 0, v13, vcc
	v_cmp_neq_f32_e32 vcc, 0, v16
	v_add_u32_e32 v15, v20, v15
	v_div_fixup_f32 v17, v17, v16, 1.0
	v_fma_mixlo_f16 v16, v19, s0, 0
	v_cndmask_b32_e32 v0, 0, v17, vcc
	global_store_short v[12:13], v16, off
	v_mov_b32_e32 v16, s7
	v_add_co_u32_e32 v14, vcc, s6, v14
	v_addc_co_u32_e32 v15, vcc, v16, v15, vcc
	v_add_co_u32_e32 v6, vcc, v8, v6
	v_addc_co_u32_e32 v7, vcc, v9, v7, vcc
	;; [unrolled: 2-line block ×4, first 2 shown]
	v_mov_b32_e32 v6, s37
	v_add_co_u32_e32 v4, vcc, s36, v4
	v_addc_co_u32_e32 v5, vcc, v6, v5, vcc
	v_add_co_u32_e32 v4, vcc, 64, v4
	s_mov_b32 s1, 0
	v_addc_co_u32_e32 v5, vcc, 0, v5, vcc
	s_mov_b64 s[2:3], 0
	v_mov_b32_e32 v6, 0x41840000
	v_mov_b32_e32 v7, 15
	;; [unrolled: 1-line block ×4, first 2 shown]
.LBB5_2:                                ; =>This Inner Loop Header: Depth=1
	s_or_b32 s0, s2, 17
	global_load_dwordx2 v[10:11], v[4:5], off offset:-64
	global_load_dword v18, v[4:5], off
	s_lshl_b64 s[6:7], s[0:1], 2
	v_mov_b32_e32 v17, s7
	v_add_co_u32_e32 v16, vcc, s6, v2
	v_addc_co_u32_e32 v17, vcc, v3, v17, vcc
	global_load_dword v19, v[16:17], off
	v_and_b32_e32 v9, 0xff0000, v9
	v_and_b32_e32 v1, 0xffff, v1
	v_or3_b32 v1, v9, v8, v1
	s_add_i32 s6, s2, 16
	v_add_co_u32_e32 v4, vcc, 8, v4
	s_add_i32 s7, s2, 1
	v_addc_co_u32_e32 v5, vcc, 0, v5, vcc
	v_mov_b32_e32 v17, s3
	v_add_co_u32_e32 v16, vcc, s2, v14
	v_addc_co_u32_e32 v17, vcc, v15, v17, vcc
	s_waitcnt vmcnt(2)
	v_fma_f32 v8, v0, v10, v6
	s_waitcnt vmcnt(1)
	v_fma_f32 v9, v0, v18, v6
	v_fma_f32 v10, v0, v11, v6
	v_cvt_i32_f32_e32 v8, v8
	v_cvt_i32_f32_e32 v11, v9
	;; [unrolled: 1-line block ×3, first 2 shown]
	v_cvt_f64_i32_e32 v[8:9], v8
	s_waitcnt vmcnt(0)
	v_fma_f32 v20, v0, v19, v6
	v_cvt_i32_f32_e32 v20, v20
	v_cvt_f64_i32_e32 v[10:11], v11
	v_cvt_f64_i32_e32 v[18:19], v18
	v_min_f64 v[8:9], v[8:9], s[4:5]
	v_cvt_f64_i32_e32 v[20:21], v20
	v_min_f64 v[10:11], v[10:11], s[4:5]
	v_min_f64 v[18:19], v[18:19], s[4:5]
	;; [unrolled: 1-line block ×3, first 2 shown]
	v_cvt_i32_f64_e32 v8, v[8:9]
	v_cvt_i32_f64_e32 v9, v[10:11]
	;; [unrolled: 1-line block ×3, first 2 shown]
	v_and_b32_e32 v11, 15, v8
	v_cvt_i32_f64_e32 v19, v[20:21]
	v_lshlrev_b16_e32 v18, 4, v9
	v_lshrrev_b16_e32 v8, 4, v8
	v_lshrrev_b16_e32 v9, 4, v9
	v_and_b32_e32 v8, 1, v8
	v_and_b32_e32 v9, 1, v9
	v_and_b32_sdwa v20, v10, v7 dst_sel:BYTE_1 dst_unused:UNUSED_PAD src0_sel:DWORD src1_sel:DWORD
	v_lshrrev_b16_e32 v10, 4, v10
	v_lshlrev_b32_sdwa v8, s2, v8 dst_sel:DWORD dst_unused:UNUSED_PAD src0_sel:DWORD src1_sel:WORD_0
	v_lshlrev_b32_sdwa v9, s6, v9 dst_sel:DWORD dst_unused:UNUSED_PAD src0_sel:DWORD src1_sel:WORD_0
	v_and_b32_e32 v10, 1, v10
	v_or3_b32 v1, v8, v1, v9
	v_lshrrev_b16_e32 v9, 4, v19
	v_and_b32_e32 v10, 0xffff, v10
	v_lshlrev_b16_e32 v8, 12, v19
	v_and_b32_e32 v9, 1, v9
	v_or_b32_e32 v11, v18, v11
	s_add_u32 s2, s2, 2
	v_lshl_or_b32 v1, v10, s7, v1
	v_or_b32_e32 v8, v8, v20
	v_and_b32_e32 v9, 0xffff, v9
	s_addc_u32 s3, s3, 0
	v_or_b32_sdwa v8, v11, v8 dst_sel:DWORD dst_unused:UNUSED_PAD src0_sel:BYTE_0 src1_sel:DWORD
	v_lshl_or_b32 v9, v9, s0, v1
	s_cmp_lg_u32 s2, 16
	global_store_short v[16:17], v8, off offset:6
	v_and_b32_e32 v8, 0xff000000, v9
	s_cbranch_scc1 .LBB5_2
; %bb.3:
	s_mov_b32 s0, 0xffff
	v_bfi_b32 v0, s0, v1, v9
	global_store_dword v[12:13], v0, off offset:2
.LBB5_4:
	s_endpgm
	.section	.rodata,"a",@progbits
	.p2align	6, 0x0
	.amdhsa_kernel _ZL16k_set_rows_quantIl10block_q5_0Li32ETnPFvPKfPT0_EXadL_ZL23quantize_f32_q5_0_blockS2_PS0_EEEvS2_PKT_S4_llllllllllllll15HIP_vector_typeIjLj3EESC_SC_SC_SC_
		.amdhsa_group_segment_fixed_size 0
		.amdhsa_private_segment_fixed_size 0
		.amdhsa_kernarg_size 456
		.amdhsa_user_sgpr_count 6
		.amdhsa_user_sgpr_private_segment_buffer 1
		.amdhsa_user_sgpr_dispatch_ptr 0
		.amdhsa_user_sgpr_queue_ptr 0
		.amdhsa_user_sgpr_kernarg_segment_ptr 1
		.amdhsa_user_sgpr_dispatch_id 0
		.amdhsa_user_sgpr_flat_scratch_init 0
		.amdhsa_user_sgpr_private_segment_size 0
		.amdhsa_uses_dynamic_stack 0
		.amdhsa_system_sgpr_private_segment_wavefront_offset 0
		.amdhsa_system_sgpr_workgroup_id_x 1
		.amdhsa_system_sgpr_workgroup_id_y 0
		.amdhsa_system_sgpr_workgroup_id_z 0
		.amdhsa_system_sgpr_workgroup_info 0
		.amdhsa_system_vgpr_workitem_id 0
		.amdhsa_next_free_vgpr 22
		.amdhsa_next_free_sgpr 40
		.amdhsa_reserve_vcc 1
		.amdhsa_reserve_flat_scratch 0
		.amdhsa_float_round_mode_32 0
		.amdhsa_float_round_mode_16_64 0
		.amdhsa_float_denorm_mode_32 3
		.amdhsa_float_denorm_mode_16_64 3
		.amdhsa_dx10_clamp 1
		.amdhsa_ieee_mode 1
		.amdhsa_fp16_overflow 0
		.amdhsa_exception_fp_ieee_invalid_op 0
		.amdhsa_exception_fp_denorm_src 0
		.amdhsa_exception_fp_ieee_div_zero 0
		.amdhsa_exception_fp_ieee_overflow 0
		.amdhsa_exception_fp_ieee_underflow 0
		.amdhsa_exception_fp_ieee_inexact 0
		.amdhsa_exception_int_div_zero 0
	.end_amdhsa_kernel
	.section	.text._ZL16k_set_rows_quantIl10block_q5_0Li32ETnPFvPKfPT0_EXadL_ZL23quantize_f32_q5_0_blockS2_PS0_EEEvS2_PKT_S4_llllllllllllll15HIP_vector_typeIjLj3EESC_SC_SC_SC_,"axG",@progbits,_ZL16k_set_rows_quantIl10block_q5_0Li32ETnPFvPKfPT0_EXadL_ZL23quantize_f32_q5_0_blockS2_PS0_EEEvS2_PKT_S4_llllllllllllll15HIP_vector_typeIjLj3EESC_SC_SC_SC_,comdat
.Lfunc_end5:
	.size	_ZL16k_set_rows_quantIl10block_q5_0Li32ETnPFvPKfPT0_EXadL_ZL23quantize_f32_q5_0_blockS2_PS0_EEEvS2_PKT_S4_llllllllllllll15HIP_vector_typeIjLj3EESC_SC_SC_SC_, .Lfunc_end5-_ZL16k_set_rows_quantIl10block_q5_0Li32ETnPFvPKfPT0_EXadL_ZL23quantize_f32_q5_0_blockS2_PS0_EEEvS2_PKT_S4_llllllllllllll15HIP_vector_typeIjLj3EESC_SC_SC_SC_
                                        ; -- End function
	.set _ZL16k_set_rows_quantIl10block_q5_0Li32ETnPFvPKfPT0_EXadL_ZL23quantize_f32_q5_0_blockS2_PS0_EEEvS2_PKT_S4_llllllllllllll15HIP_vector_typeIjLj3EESC_SC_SC_SC_.num_vgpr, 22
	.set _ZL16k_set_rows_quantIl10block_q5_0Li32ETnPFvPKfPT0_EXadL_ZL23quantize_f32_q5_0_blockS2_PS0_EEEvS2_PKT_S4_llllllllllllll15HIP_vector_typeIjLj3EESC_SC_SC_SC_.num_agpr, 0
	.set _ZL16k_set_rows_quantIl10block_q5_0Li32ETnPFvPKfPT0_EXadL_ZL23quantize_f32_q5_0_blockS2_PS0_EEEvS2_PKT_S4_llllllllllllll15HIP_vector_typeIjLj3EESC_SC_SC_SC_.numbered_sgpr, 40
	.set _ZL16k_set_rows_quantIl10block_q5_0Li32ETnPFvPKfPT0_EXadL_ZL23quantize_f32_q5_0_blockS2_PS0_EEEvS2_PKT_S4_llllllllllllll15HIP_vector_typeIjLj3EESC_SC_SC_SC_.num_named_barrier, 0
	.set _ZL16k_set_rows_quantIl10block_q5_0Li32ETnPFvPKfPT0_EXadL_ZL23quantize_f32_q5_0_blockS2_PS0_EEEvS2_PKT_S4_llllllllllllll15HIP_vector_typeIjLj3EESC_SC_SC_SC_.private_seg_size, 0
	.set _ZL16k_set_rows_quantIl10block_q5_0Li32ETnPFvPKfPT0_EXadL_ZL23quantize_f32_q5_0_blockS2_PS0_EEEvS2_PKT_S4_llllllllllllll15HIP_vector_typeIjLj3EESC_SC_SC_SC_.uses_vcc, 1
	.set _ZL16k_set_rows_quantIl10block_q5_0Li32ETnPFvPKfPT0_EXadL_ZL23quantize_f32_q5_0_blockS2_PS0_EEEvS2_PKT_S4_llllllllllllll15HIP_vector_typeIjLj3EESC_SC_SC_SC_.uses_flat_scratch, 0
	.set _ZL16k_set_rows_quantIl10block_q5_0Li32ETnPFvPKfPT0_EXadL_ZL23quantize_f32_q5_0_blockS2_PS0_EEEvS2_PKT_S4_llllllllllllll15HIP_vector_typeIjLj3EESC_SC_SC_SC_.has_dyn_sized_stack, 0
	.set _ZL16k_set_rows_quantIl10block_q5_0Li32ETnPFvPKfPT0_EXadL_ZL23quantize_f32_q5_0_blockS2_PS0_EEEvS2_PKT_S4_llllllllllllll15HIP_vector_typeIjLj3EESC_SC_SC_SC_.has_recursion, 0
	.set _ZL16k_set_rows_quantIl10block_q5_0Li32ETnPFvPKfPT0_EXadL_ZL23quantize_f32_q5_0_blockS2_PS0_EEEvS2_PKT_S4_llllllllllllll15HIP_vector_typeIjLj3EESC_SC_SC_SC_.has_indirect_call, 0
	.section	.AMDGPU.csdata,"",@progbits
; Kernel info:
; codeLenInByte = 2080
; TotalNumSgprs: 44
; NumVgprs: 22
; ScratchSize: 0
; MemoryBound: 0
; FloatMode: 240
; IeeeMode: 1
; LDSByteSize: 0 bytes/workgroup (compile time only)
; SGPRBlocks: 5
; VGPRBlocks: 5
; NumSGPRsForWavesPerEU: 44
; NumVGPRsForWavesPerEU: 22
; Occupancy: 10
; WaveLimiterHint : 1
; COMPUTE_PGM_RSRC2:SCRATCH_EN: 0
; COMPUTE_PGM_RSRC2:USER_SGPR: 6
; COMPUTE_PGM_RSRC2:TRAP_HANDLER: 0
; COMPUTE_PGM_RSRC2:TGID_X_EN: 1
; COMPUTE_PGM_RSRC2:TGID_Y_EN: 0
; COMPUTE_PGM_RSRC2:TGID_Z_EN: 0
; COMPUTE_PGM_RSRC2:TIDIG_COMP_CNT: 0
	.section	.text._ZL16k_set_rows_quantIl10block_q5_1Li32ETnPFvPKfPT0_EXadL_ZL23quantize_f32_q5_1_blockS2_PS0_EEEvS2_PKT_S4_llllllllllllll15HIP_vector_typeIjLj3EESC_SC_SC_SC_,"axG",@progbits,_ZL16k_set_rows_quantIl10block_q5_1Li32ETnPFvPKfPT0_EXadL_ZL23quantize_f32_q5_1_blockS2_PS0_EEEvS2_PKT_S4_llllllllllllll15HIP_vector_typeIjLj3EESC_SC_SC_SC_,comdat
	.globl	_ZL16k_set_rows_quantIl10block_q5_1Li32ETnPFvPKfPT0_EXadL_ZL23quantize_f32_q5_1_blockS2_PS0_EEEvS2_PKT_S4_llllllllllllll15HIP_vector_typeIjLj3EESC_SC_SC_SC_ ; -- Begin function _ZL16k_set_rows_quantIl10block_q5_1Li32ETnPFvPKfPT0_EXadL_ZL23quantize_f32_q5_1_blockS2_PS0_EEEvS2_PKT_S4_llllllllllllll15HIP_vector_typeIjLj3EESC_SC_SC_SC_
	.p2align	8
	.type	_ZL16k_set_rows_quantIl10block_q5_1Li32ETnPFvPKfPT0_EXadL_ZL23quantize_f32_q5_1_blockS2_PS0_EEEvS2_PKT_S4_llllllllllllll15HIP_vector_typeIjLj3EESC_SC_SC_SC_,@function
_ZL16k_set_rows_quantIl10block_q5_1Li32ETnPFvPKfPT0_EXadL_ZL23quantize_f32_q5_1_blockS2_PS0_EEEvS2_PKT_S4_llllllllllllll15HIP_vector_typeIjLj3EESC_SC_SC_SC_: ; @_ZL16k_set_rows_quantIl10block_q5_1Li32ETnPFvPKfPT0_EXadL_ZL23quantize_f32_q5_1_blockS2_PS0_EEEvS2_PKT_S4_llllllllllllll15HIP_vector_typeIjLj3EESC_SC_SC_SC_
; %bb.0:
	s_load_dword s2, s[4:5], 0xd4
	s_load_dwordx2 s[0:1], s[4:5], 0x18
	v_mov_b32_e32 v1, 0
	v_mov_b32_e32 v2, s6
	s_waitcnt lgkmcnt(0)
	s_and_b32 s2, s2, 0xffff
	v_mad_u64_u32 v[2:3], s[2:3], s2, v2, v[0:1]
	v_cmp_gt_i64_e32 vcc, s[0:1], v[2:3]
	s_and_saveexec_b64 s[0:1], vcc
	s_cbranch_execz .LBB6_4
; %bb.1:
	s_load_dwordx8 s[24:31], s[4:5], 0x88
	v_lshlrev_b32_e32 v5, 5, v2
	s_load_dwordx4 s[36:39], s[4:5], 0x0
	s_load_dwordx2 s[6:7], s[4:5], 0x10
	s_load_dwordx16 s[8:23], s[4:5], 0x40
	s_load_dwordx4 s[0:3], s[4:5], 0xa8
	s_waitcnt lgkmcnt(0)
	v_mul_hi_u32 v0, s24, v5
	v_mov_b32_e32 v10, s37
	v_add_u32_e32 v0, v5, v0
	v_lshrrev_b32_e32 v0, s25, v0
	v_mul_hi_u32 v2, v0, s27
	v_mul_lo_u32 v8, v0, s26
	v_add_u32_e32 v2, v0, v2
	v_lshrrev_b32_e32 v4, s28, v2
	v_mul_lo_u32 v2, v4, s29
	v_mul_hi_u32 v3, v4, s30
	v_sub_u32_e32 v15, v0, v2
	v_add_u32_e32 v2, v4, v3
	v_lshrrev_b32_e32 v12, s31, v2
	v_mad_u64_u32 v[2:3], s[24:25], s8, v15, 0
	v_mul_lo_u32 v6, v12, s0
	v_mov_b32_e32 v0, v3
	v_sub_u32_e32 v13, v4, v6
	v_mad_u64_u32 v[3:4], s[8:9], s9, v15, v[0:1]
	v_mad_u64_u32 v[6:7], s[8:9], s10, v13, 0
	v_sub_u32_e32 v0, v5, v8
	v_lshlrev_b64 v[4:5], 2, v[2:3]
	v_mov_b32_e32 v2, v7
	v_mad_u64_u32 v[2:3], s[8:9], s11, v13, v[2:3]
	v_mad_u64_u32 v[8:9], s[8:9], s12, v12, 0
	v_mov_b32_e32 v7, v2
	v_add_co_u32_e32 v11, vcc, s36, v4
	v_mov_b32_e32 v2, v9
	v_mad_u64_u32 v[2:3], s[8:9], s13, v12, v[2:3]
	v_lshlrev_b64 v[6:7], 2, v[6:7]
	v_addc_co_u32_e32 v10, vcc, v10, v5, vcc
	v_mov_b32_e32 v9, v2
	v_add_co_u32_e32 v3, vcc, v11, v6
	v_lshlrev_b64 v[8:9], 2, v[8:9]
	v_addc_co_u32_e32 v10, vcc, v10, v7, vcc
	v_add_co_u32_e32 v2, vcc, v3, v8
	v_addc_co_u32_e32 v3, vcc, v10, v9, vcc
	v_lshlrev_b64 v[10:11], 2, v[0:1]
	v_lshrrev_b32_e32 v0, 5, v0
	v_add_co_u32_e32 v2, vcc, v2, v10
	v_addc_co_u32_e32 v3, vcc, v3, v11, vcc
	global_load_dwordx4 v[16:19], v[2:3], off
	v_mul_lo_u32 v0, v0, 24
	s_waitcnt vmcnt(0)
	v_cmp_lt_f32_e32 vcc, v17, v16
	v_cndmask_b32_e32 v14, v16, v17, vcc
	v_cmp_lt_f32_e32 vcc, v18, v14
	v_cndmask_b32_e32 v14, v14, v18, vcc
	v_cmp_gt_f32_e32 vcc, v17, v16
	v_cndmask_b32_e32 v16, v16, v17, vcc
	v_cmp_gt_f32_e32 vcc, v18, v16
	v_cndmask_b32_e32 v16, v16, v18, vcc
	v_cmp_lt_f32_e32 vcc, v19, v14
	v_cndmask_b32_e32 v14, v14, v19, vcc
	v_cmp_gt_f32_e32 vcc, v19, v16
	v_cndmask_b32_e32 v20, v16, v19, vcc
	global_load_dwordx4 v[16:19], v[2:3], off offset:16
	s_waitcnt vmcnt(0)
	v_cmp_lt_f32_e32 vcc, v16, v14
	v_cndmask_b32_e32 v14, v14, v16, vcc
	v_cmp_gt_f32_e32 vcc, v16, v20
	v_cndmask_b32_e32 v16, v20, v16, vcc
	v_cmp_lt_f32_e32 vcc, v17, v14
	v_cndmask_b32_e32 v14, v14, v17, vcc
	v_cmp_gt_f32_e32 vcc, v17, v16
	v_cndmask_b32_e32 v16, v16, v17, vcc
	v_cmp_lt_f32_e32 vcc, v18, v14
	v_cndmask_b32_e32 v14, v14, v18, vcc
	v_cmp_gt_f32_e32 vcc, v18, v16
	v_cndmask_b32_e32 v16, v16, v18, vcc
	v_cmp_lt_f32_e32 vcc, v19, v14
	v_cndmask_b32_e32 v14, v14, v19, vcc
	v_cmp_gt_f32_e32 vcc, v19, v16
	v_cndmask_b32_e32 v20, v16, v19, vcc
	global_load_dwordx4 v[16:19], v[2:3], off offset:32
	s_waitcnt vmcnt(0)
	v_cmp_lt_f32_e32 vcc, v16, v14
	v_cndmask_b32_e32 v14, v14, v16, vcc
	v_cmp_gt_f32_e32 vcc, v16, v20
	v_cndmask_b32_e32 v16, v20, v16, vcc
	v_cmp_lt_f32_e32 vcc, v17, v14
	v_cndmask_b32_e32 v14, v14, v17, vcc
	v_cmp_gt_f32_e32 vcc, v17, v16
	v_cndmask_b32_e32 v16, v16, v17, vcc
	v_cmp_lt_f32_e32 vcc, v18, v14
	;; [unrolled: 18-line block ×7, first 2 shown]
	v_cndmask_b32_e32 v14, v14, v18, vcc
	v_cmp_gt_f32_e32 vcc, v18, v16
	v_cndmask_b32_e32 v16, v16, v18, vcc
	v_cmp_lt_f32_e32 vcc, v19, v14
	v_cndmask_b32_e32 v14, v14, v19, vcc
	v_cmp_gt_f32_e32 vcc, v19, v16
	v_cndmask_b32_e32 v19, v16, v19, vcc
	v_mad_u64_u32 v[16:17], s[8:9], s14, v15, 0
	v_mad_u64_u32 v[17:18], s[8:9], s15, v15, v[17:18]
	v_lshlrev_b64 v[15:16], 3, v[16:17]
	v_mov_b32_e32 v17, s39
	v_add_co_u32_e32 v18, vcc, s38, v15
	v_mul_hi_u32 v15, v13, s1
	v_addc_co_u32_e32 v20, vcc, v17, v16, vcc
	v_add_u32_e32 v15, v13, v15
	v_lshrrev_b32_e32 v15, s2, v15
	v_mul_lo_u32 v15, v15, s3
	v_sub_u32_e32 v17, v13, v15
	v_mad_u64_u32 v[15:16], s[0:1], s16, v17, 0
	v_mad_u64_u32 v[16:17], s[0:1], s17, v17, v[16:17]
	s_load_dwordx2 s[0:1], s[4:5], 0xb8
	v_lshlrev_b64 v[15:16], 3, v[15:16]
	v_add_co_u32_e32 v18, vcc, v18, v15
	s_waitcnt lgkmcnt(0)
	v_mul_hi_u32 v15, v12, s0
	s_load_dword s0, s[4:5], 0xc0
	v_addc_co_u32_e32 v20, vcc, v20, v16, vcc
	v_add_u32_e32 v15, v12, v15
	v_lshrrev_b32_e32 v15, s1, v15
	s_waitcnt lgkmcnt(0)
	v_mul_lo_u32 v15, v15, s0
	v_sub_u32_e32 v17, v12, v15
	v_mad_u64_u32 v[15:16], s[0:1], s18, v17, 0
	v_mad_u64_u32 v[16:17], s[0:1], s19, v17, v[16:17]
	v_lshlrev_b64 v[15:16], 3, v[15:16]
	v_add_co_u32_e32 v15, vcc, v18, v15
	v_addc_co_u32_e32 v16, vcc, v20, v16, vcc
	global_load_dwordx2 v[15:16], v[15:16], off
	v_sub_f32_e32 v20, v19, v14
	s_waitcnt vmcnt(0)
	v_mul_lo_u32 v17, v16, s20
	v_mul_lo_u32 v18, v15, s21
	v_mad_u64_u32 v[15:16], s[0:1], v15, s20, 0
	s_load_dwordx2 s[0:1], s[4:5], 0x80
	s_mov_b32 s4, 0xaaaaaaaa
	v_add3_u32 v16, v16, v18, v17
	s_waitcnt lgkmcnt(0)
	v_mad_u64_u32 v[15:16], s[2:3], s0, v12, v[15:16]
	s_mov_b32 s2, 0x41f80000
	v_mad_u64_u32 v[16:17], s[0:1], s1, v12, v[16:17]
	v_div_scale_f32 v12, s[0:1], s2, s2, v20
	v_mad_u64_u32 v[15:16], s[0:1], s22, v13, v[15:16]
	v_rcp_f32_e32 v17, v12
	v_fma_f32 v18, -v12, v17, 1.0
	v_fmac_f32_e32 v17, v18, v17
	v_div_scale_f32 v18, vcc, v20, s2, v20
	v_mul_f32_e32 v19, v18, v17
	v_fma_f32 v21, -v12, v19, v18
	v_fmac_f32_e32 v19, v21, v17
	v_fma_f32 v12, -v12, v19, v18
	v_div_fmas_f32 v21, v12, v17, v19
	v_mov_b32_e32 v12, v16
	v_mad_u64_u32 v[12:13], s[0:1], s23, v13, v[12:13]
	s_mov_b32 s0, 0xaaaaaaab
	v_mul_hi_u32 v16, v15, s0
	v_mov_b32_e32 v17, v1
	v_mov_b32_e32 v19, v1
	v_mad_u64_u32 v[16:17], s[0:1], v12, s0, v[16:17]
	v_mov_b32_e32 v18, v16
	v_mad_u64_u32 v[15:16], s[0:1], v15, s4, v[18:19]
	v_add_co_u32_e32 v15, vcc, v17, v16
	v_div_fixup_f32 v17, v21, s2, v20
	v_div_scale_f32 v18, s[0:1], v17, v17, 1.0
	v_div_scale_f32 v19, s[0:1], 1.0, v17, 1.0
	v_addc_co_u32_e64 v16, s[2:3], 0, 0, vcc
	v_mad_u64_u32 v[12:13], s[2:3], v12, s4, v[15:16]
	s_mov_b64 vcc, s[0:1]
	s_mov_b64 s[2:3], 0
	v_rcp_f32_e32 v15, v18
	v_fma_f32 v16, -v18, v15, 1.0
	v_fmac_f32_e32 v15, v16, v15
	v_mul_f32_e32 v16, v19, v15
	v_fma_f32 v20, -v18, v16, v19
	v_fmac_f32_e32 v16, v20, v15
	v_fma_f32 v18, -v18, v16, v19
	v_div_fmas_f32 v18, v18, v15, v16
	v_alignbit_b32 v19, v13, v12, 4
	v_lshrrev_b32_e32 v12, 4, v13
	v_mad_u64_u32 v[15:16], s[0:1], v19, 24, s[6:7]
	v_mul_lo_u32 v20, v12, 24
	v_add_co_u32_e32 v12, vcc, v15, v0
	v_add_u32_e32 v13, v20, v16
	v_cvt_f16_f32_e32 v15, v17
	v_cvt_f16_f32_e32 v16, v14
	v_addc_co_u32_e32 v13, vcc, 0, v13, vcc
	v_cmp_neq_f32_e32 vcc, 0, v17
	v_div_fixup_f32 v18, v18, v17, 1.0
	v_pack_b32_f16 v17, v15, v16
	v_mad_u64_u32 v[15:16], s[0:1], v19, 24, v[0:1]
	v_cndmask_b32_e32 v0, 0, v18, vcc
	global_store_dword v[12:13], v17, off
	v_add_u32_e32 v16, v20, v16
	v_mov_b32_e32 v17, s7
	v_add_co_u32_e32 v15, vcc, s6, v15
	v_addc_co_u32_e32 v16, vcc, v17, v16, vcc
	v_add_co_u32_e32 v6, vcc, v8, v6
	v_addc_co_u32_e32 v7, vcc, v9, v7, vcc
	;; [unrolled: 2-line block ×4, first 2 shown]
	v_mov_b32_e32 v6, s37
	v_add_co_u32_e32 v4, vcc, s36, v4
	v_addc_co_u32_e32 v5, vcc, v6, v5, vcc
	v_add_co_u32_e32 v4, vcc, 64, v4
	s_mov_b32 s1, 0
	v_addc_co_u32_e32 v5, vcc, 0, v5, vcc
	v_mov_b32_e32 v6, 15
	v_mov_b32_e32 v7, 0
	;; [unrolled: 1-line block ×3, first 2 shown]
.LBB6_2:                                ; =>This Inner Loop Header: Depth=1
	s_or_b32 s0, s2, 17
	s_lshl_b64 s[4:5], s[0:1], 2
	v_mov_b32_e32 v10, s5
	v_add_co_u32_e32 v9, vcc, s4, v2
	v_addc_co_u32_e32 v10, vcc, v3, v10, vcc
	global_load_dwordx4 v[17:20], v[4:5], off offset:-64
	global_load_dword v11, v[4:5], off
	v_and_b32_e32 v1, 0xffff, v1
	global_load_dword v9, v[9:10], off
	v_and_b32_e32 v7, 0xff0000, v7
	v_or3_b32 v1, v7, v8, v1
	s_waitcnt vmcnt(2)
	v_sub_f32_e32 v17, v17, v14
	s_waitcnt vmcnt(1)
	v_sub_f32_e32 v7, v11, v14
	v_fma_f32 v8, v0, v17, 0.5
	s_waitcnt vmcnt(0)
	v_sub_f32_e32 v9, v9, v14
	v_fma_f32 v9, v0, v9, 0.5
	v_cvt_i32_f32_e32 v21, v9
	v_fma_f32 v7, v0, v7, 0.5
	v_cvt_i32_f32_e32 v11, v8
	v_cvt_i32_f32_e32 v17, v7
	v_lshrrev_b16_e32 v9, 4, v21
	v_and_b32_e32 v9, 1, v9
	v_lshlrev_b32_sdwa v22, s0, v9 dst_sel:DWORD dst_unused:UNUSED_PAD src0_sel:DWORD src1_sel:WORD_0
	s_or_b32 s0, s2, 18
	s_lshl_b64 s[4:5], s[0:1], 2
	v_mov_b32_e32 v10, s5
	v_add_co_u32_e32 v9, vcc, s4, v2
	v_addc_co_u32_e32 v10, vcc, v3, v10, vcc
	global_load_dword v9, v[9:10], off
	v_sub_f32_e32 v18, v18, v14
	v_fma_f32 v10, v0, v18, 0.5
	v_cvt_i32_f32_e32 v10, v10
	v_lshrrev_b16_e32 v7, 4, v11
	v_lshrrev_b16_e32 v8, 4, v17
	s_add_i32 s4, s2, 16
	v_and_b32_e32 v7, 1, v7
	v_and_b32_e32 v8, 1, v8
	v_lshlrev_b32_sdwa v7, s2, v7 dst_sel:DWORD dst_unused:UNUSED_PAD src0_sel:DWORD src1_sel:WORD_0
	v_lshlrev_b32_sdwa v8, s4, v8 dst_sel:DWORD dst_unused:UNUSED_PAD src0_sel:DWORD src1_sel:WORD_0
	v_or3_b32 v1, v7, v1, v8
	v_lshrrev_b16_e32 v7, 4, v10
	s_add_i32 s5, s2, 1
	v_and_b32_e32 v7, 1, v7
	v_lshlrev_b32_sdwa v7, s5, v7 dst_sel:DWORD dst_unused:UNUSED_PAD src0_sel:DWORD src1_sel:WORD_0
	v_or3_b32 v1, v7, v1, v22
	v_sub_f32_e32 v19, v19, v14
	v_and_b32_e32 v11, 15, v11
	v_lshlrev_b16_e32 v17, 4, v17
	v_or_b32_e32 v11, v17, v11
	v_fma_f32 v17, v0, v19, 0.5
	v_sub_f32_e32 v20, v20, v14
	v_cvt_i32_f32_e32 v17, v17
	v_fma_f32 v19, v0, v20, 0.5
	v_cvt_i32_f32_e32 v19, v19
	v_and_b32_sdwa v10, v10, v6 dst_sel:BYTE_1 dst_unused:UNUSED_PAD src0_sel:DWORD src1_sel:DWORD
	v_lshlrev_b16_e32 v20, 12, v21
	v_or_b32_e32 v10, v20, v10
	v_and_b32_e32 v20, 15, v17
	v_lshrrev_b16_e32 v17, 4, v17
	v_and_b32_e32 v17, 1, v17
	v_or_b32_sdwa v10, v11, v10 dst_sel:DWORD dst_unused:UNUSED_PAD src0_sel:BYTE_0 src1_sel:DWORD
	v_and_b32_sdwa v11, v19, v6 dst_sel:BYTE_1 dst_unused:UNUSED_PAD src0_sel:DWORD src1_sel:DWORD
	v_lshrrev_b16_e32 v19, 4, v19
	v_and_b32_e32 v19, 1, v19
	v_and_b32_e32 v19, 0xffff, v19
	s_waitcnt vmcnt(0)
	v_sub_f32_e32 v7, v9, v14
	v_fma_f32 v7, v0, v7, 0.5
	v_cvt_i32_f32_e32 v18, v7
	v_mov_b32_e32 v9, s3
	v_lshrrev_b16_e32 v7, 4, v18
	v_and_b32_e32 v7, 1, v7
	v_lshlrev_b32_sdwa v22, s0, v7 dst_sel:DWORD dst_unused:UNUSED_PAD src0_sel:DWORD src1_sel:WORD_0
	s_or_b32 s0, s2, 19
	s_lshl_b64 s[4:5], s[0:1], 2
	v_mov_b32_e32 v8, s5
	v_add_co_u32_e32 v7, vcc, s4, v2
	v_addc_co_u32_e32 v8, vcc, v3, v8, vcc
	global_load_dword v7, v[7:8], off
	s_add_i32 s4, s2, 2
	v_lshlrev_b32_sdwa v17, s4, v17 dst_sel:DWORD dst_unused:UNUSED_PAD src0_sel:DWORD src1_sel:WORD_0
	v_lshlrev_b16_e32 v18, 4, v18
	v_or3_b32 v1, v17, v1, v22
	v_add_co_u32_e32 v8, vcc, s2, v15
	s_add_i32 s5, s2, 3
	v_or_b32_e32 v18, v18, v20
	v_addc_co_u32_e32 v9, vcc, v16, v9, vcc
	v_lshl_or_b32 v1, v19, s5, v1
	s_add_u32 s2, s2, 4
	v_add_co_u32_e32 v4, vcc, 16, v4
	s_addc_u32 s3, s3, 0
	v_addc_co_u32_e32 v5, vcc, 0, v5, vcc
	s_cmp_lg_u32 s2, 16
	s_waitcnt vmcnt(0)
	v_sub_f32_e32 v7, v7, v14
	v_fma_f32 v7, v0, v7, 0.5
	v_cvt_i32_f32_e32 v7, v7
	v_lshlrev_b16_e32 v17, 12, v7
	v_lshrrev_b16_e32 v7, 4, v7
	v_or_b32_e32 v11, v17, v11
	v_and_b32_e32 v7, 1, v7
	v_or_b32_sdwa v11, v18, v11 dst_sel:WORD_1 dst_unused:UNUSED_PAD src0_sel:BYTE_0 src1_sel:DWORD
	v_and_b32_e32 v7, 0xffff, v7
	v_or_b32_sdwa v10, v10, v11 dst_sel:DWORD dst_unused:UNUSED_PAD src0_sel:WORD_0 src1_sel:DWORD
	v_lshl_or_b32 v7, v7, s0, v1
	global_store_dword v[8:9], v10, off offset:8
	v_and_b32_e32 v8, 0xff000000, v7
	s_cbranch_scc1 .LBB6_2
; %bb.3:
	s_mov_b32 s0, 0xffff
	v_bfi_b32 v0, s0, v1, v7
	global_store_dword v[12:13], v0, off offset:4
.LBB6_4:
	s_endpgm
	.section	.rodata,"a",@progbits
	.p2align	6, 0x0
	.amdhsa_kernel _ZL16k_set_rows_quantIl10block_q5_1Li32ETnPFvPKfPT0_EXadL_ZL23quantize_f32_q5_1_blockS2_PS0_EEEvS2_PKT_S4_llllllllllllll15HIP_vector_typeIjLj3EESC_SC_SC_SC_
		.amdhsa_group_segment_fixed_size 0
		.amdhsa_private_segment_fixed_size 0
		.amdhsa_kernarg_size 456
		.amdhsa_user_sgpr_count 6
		.amdhsa_user_sgpr_private_segment_buffer 1
		.amdhsa_user_sgpr_dispatch_ptr 0
		.amdhsa_user_sgpr_queue_ptr 0
		.amdhsa_user_sgpr_kernarg_segment_ptr 1
		.amdhsa_user_sgpr_dispatch_id 0
		.amdhsa_user_sgpr_flat_scratch_init 0
		.amdhsa_user_sgpr_private_segment_size 0
		.amdhsa_uses_dynamic_stack 0
		.amdhsa_system_sgpr_private_segment_wavefront_offset 0
		.amdhsa_system_sgpr_workgroup_id_x 1
		.amdhsa_system_sgpr_workgroup_id_y 0
		.amdhsa_system_sgpr_workgroup_id_z 0
		.amdhsa_system_sgpr_workgroup_info 0
		.amdhsa_system_vgpr_workitem_id 0
		.amdhsa_next_free_vgpr 23
		.amdhsa_next_free_sgpr 40
		.amdhsa_reserve_vcc 1
		.amdhsa_reserve_flat_scratch 0
		.amdhsa_float_round_mode_32 0
		.amdhsa_float_round_mode_16_64 0
		.amdhsa_float_denorm_mode_32 3
		.amdhsa_float_denorm_mode_16_64 3
		.amdhsa_dx10_clamp 1
		.amdhsa_ieee_mode 1
		.amdhsa_fp16_overflow 0
		.amdhsa_exception_fp_ieee_invalid_op 0
		.amdhsa_exception_fp_denorm_src 0
		.amdhsa_exception_fp_ieee_div_zero 0
		.amdhsa_exception_fp_ieee_overflow 0
		.amdhsa_exception_fp_ieee_underflow 0
		.amdhsa_exception_fp_ieee_inexact 0
		.amdhsa_exception_int_div_zero 0
	.end_amdhsa_kernel
	.section	.text._ZL16k_set_rows_quantIl10block_q5_1Li32ETnPFvPKfPT0_EXadL_ZL23quantize_f32_q5_1_blockS2_PS0_EEEvS2_PKT_S4_llllllllllllll15HIP_vector_typeIjLj3EESC_SC_SC_SC_,"axG",@progbits,_ZL16k_set_rows_quantIl10block_q5_1Li32ETnPFvPKfPT0_EXadL_ZL23quantize_f32_q5_1_blockS2_PS0_EEEvS2_PKT_S4_llllllllllllll15HIP_vector_typeIjLj3EESC_SC_SC_SC_,comdat
.Lfunc_end6:
	.size	_ZL16k_set_rows_quantIl10block_q5_1Li32ETnPFvPKfPT0_EXadL_ZL23quantize_f32_q5_1_blockS2_PS0_EEEvS2_PKT_S4_llllllllllllll15HIP_vector_typeIjLj3EESC_SC_SC_SC_, .Lfunc_end6-_ZL16k_set_rows_quantIl10block_q5_1Li32ETnPFvPKfPT0_EXadL_ZL23quantize_f32_q5_1_blockS2_PS0_EEEvS2_PKT_S4_llllllllllllll15HIP_vector_typeIjLj3EESC_SC_SC_SC_
                                        ; -- End function
	.set _ZL16k_set_rows_quantIl10block_q5_1Li32ETnPFvPKfPT0_EXadL_ZL23quantize_f32_q5_1_blockS2_PS0_EEEvS2_PKT_S4_llllllllllllll15HIP_vector_typeIjLj3EESC_SC_SC_SC_.num_vgpr, 23
	.set _ZL16k_set_rows_quantIl10block_q5_1Li32ETnPFvPKfPT0_EXadL_ZL23quantize_f32_q5_1_blockS2_PS0_EEEvS2_PKT_S4_llllllllllllll15HIP_vector_typeIjLj3EESC_SC_SC_SC_.num_agpr, 0
	.set _ZL16k_set_rows_quantIl10block_q5_1Li32ETnPFvPKfPT0_EXadL_ZL23quantize_f32_q5_1_blockS2_PS0_EEEvS2_PKT_S4_llllllllllllll15HIP_vector_typeIjLj3EESC_SC_SC_SC_.numbered_sgpr, 40
	.set _ZL16k_set_rows_quantIl10block_q5_1Li32ETnPFvPKfPT0_EXadL_ZL23quantize_f32_q5_1_blockS2_PS0_EEEvS2_PKT_S4_llllllllllllll15HIP_vector_typeIjLj3EESC_SC_SC_SC_.num_named_barrier, 0
	.set _ZL16k_set_rows_quantIl10block_q5_1Li32ETnPFvPKfPT0_EXadL_ZL23quantize_f32_q5_1_blockS2_PS0_EEEvS2_PKT_S4_llllllllllllll15HIP_vector_typeIjLj3EESC_SC_SC_SC_.private_seg_size, 0
	.set _ZL16k_set_rows_quantIl10block_q5_1Li32ETnPFvPKfPT0_EXadL_ZL23quantize_f32_q5_1_blockS2_PS0_EEEvS2_PKT_S4_llllllllllllll15HIP_vector_typeIjLj3EESC_SC_SC_SC_.uses_vcc, 1
	.set _ZL16k_set_rows_quantIl10block_q5_1Li32ETnPFvPKfPT0_EXadL_ZL23quantize_f32_q5_1_blockS2_PS0_EEEvS2_PKT_S4_llllllllllllll15HIP_vector_typeIjLj3EESC_SC_SC_SC_.uses_flat_scratch, 0
	.set _ZL16k_set_rows_quantIl10block_q5_1Li32ETnPFvPKfPT0_EXadL_ZL23quantize_f32_q5_1_blockS2_PS0_EEEvS2_PKT_S4_llllllllllllll15HIP_vector_typeIjLj3EESC_SC_SC_SC_.has_dyn_sized_stack, 0
	.set _ZL16k_set_rows_quantIl10block_q5_1Li32ETnPFvPKfPT0_EXadL_ZL23quantize_f32_q5_1_blockS2_PS0_EEEvS2_PKT_S4_llllllllllllll15HIP_vector_typeIjLj3EESC_SC_SC_SC_.has_recursion, 0
	.set _ZL16k_set_rows_quantIl10block_q5_1Li32ETnPFvPKfPT0_EXadL_ZL23quantize_f32_q5_1_blockS2_PS0_EEEvS2_PKT_S4_llllllllllllll15HIP_vector_typeIjLj3EESC_SC_SC_SC_.has_indirect_call, 0
	.section	.AMDGPU.csdata,"",@progbits
; Kernel info:
; codeLenInByte = 2208
; TotalNumSgprs: 44
; NumVgprs: 23
; ScratchSize: 0
; MemoryBound: 0
; FloatMode: 240
; IeeeMode: 1
; LDSByteSize: 0 bytes/workgroup (compile time only)
; SGPRBlocks: 5
; VGPRBlocks: 5
; NumSGPRsForWavesPerEU: 44
; NumVGPRsForWavesPerEU: 23
; Occupancy: 10
; WaveLimiterHint : 1
; COMPUTE_PGM_RSRC2:SCRATCH_EN: 0
; COMPUTE_PGM_RSRC2:USER_SGPR: 6
; COMPUTE_PGM_RSRC2:TRAP_HANDLER: 0
; COMPUTE_PGM_RSRC2:TGID_X_EN: 1
; COMPUTE_PGM_RSRC2:TGID_Y_EN: 0
; COMPUTE_PGM_RSRC2:TGID_Z_EN: 0
; COMPUTE_PGM_RSRC2:TIDIG_COMP_CNT: 0
	.section	.text._ZL16k_set_rows_quantIl10block_q8_0Li32ETnPFvPKfPT0_EXadL_ZL23quantize_f32_q8_0_blockS2_PS0_EEEvS2_PKT_S4_llllllllllllll15HIP_vector_typeIjLj3EESC_SC_SC_SC_,"axG",@progbits,_ZL16k_set_rows_quantIl10block_q8_0Li32ETnPFvPKfPT0_EXadL_ZL23quantize_f32_q8_0_blockS2_PS0_EEEvS2_PKT_S4_llllllllllllll15HIP_vector_typeIjLj3EESC_SC_SC_SC_,comdat
	.globl	_ZL16k_set_rows_quantIl10block_q8_0Li32ETnPFvPKfPT0_EXadL_ZL23quantize_f32_q8_0_blockS2_PS0_EEEvS2_PKT_S4_llllllllllllll15HIP_vector_typeIjLj3EESC_SC_SC_SC_ ; -- Begin function _ZL16k_set_rows_quantIl10block_q8_0Li32ETnPFvPKfPT0_EXadL_ZL23quantize_f32_q8_0_blockS2_PS0_EEEvS2_PKT_S4_llllllllllllll15HIP_vector_typeIjLj3EESC_SC_SC_SC_
	.p2align	8
	.type	_ZL16k_set_rows_quantIl10block_q8_0Li32ETnPFvPKfPT0_EXadL_ZL23quantize_f32_q8_0_blockS2_PS0_EEEvS2_PKT_S4_llllllllllllll15HIP_vector_typeIjLj3EESC_SC_SC_SC_,@function
_ZL16k_set_rows_quantIl10block_q8_0Li32ETnPFvPKfPT0_EXadL_ZL23quantize_f32_q8_0_blockS2_PS0_EEEvS2_PKT_S4_llllllllllllll15HIP_vector_typeIjLj3EESC_SC_SC_SC_: ; @_ZL16k_set_rows_quantIl10block_q8_0Li32ETnPFvPKfPT0_EXadL_ZL23quantize_f32_q8_0_blockS2_PS0_EEEvS2_PKT_S4_llllllllllllll15HIP_vector_typeIjLj3EESC_SC_SC_SC_
; %bb.0:
	s_load_dword s2, s[4:5], 0xd4
	s_load_dwordx2 s[0:1], s[4:5], 0x18
	v_mov_b32_e32 v1, 0
	v_mov_b32_e32 v2, s6
	s_waitcnt lgkmcnt(0)
	s_and_b32 s2, s2, 0xffff
	v_mad_u64_u32 v[2:3], s[2:3], s2, v2, v[0:1]
	v_cmp_gt_i64_e32 vcc, s[0:1], v[2:3]
	s_and_saveexec_b64 s[0:1], vcc
	s_cbranch_execz .LBB7_2
; %bb.1:
	s_load_dwordx8 s[24:31], s[4:5], 0x88
	v_lshlrev_b32_e32 v0, 5, v2
	s_load_dwordx16 s[8:23], s[4:5], 0x40
	s_load_dword s33, s[4:5], 0xc0
	s_waitcnt lgkmcnt(0)
	v_mul_hi_u32 v2, s24, v0
	v_add_u32_e32 v2, v0, v2
	v_lshrrev_b32_e32 v2, s25, v2
	v_mul_hi_u32 v3, v2, s27
	s_load_dwordx2 s[6:7], s[4:5], 0xb8
	s_load_dwordx4 s[36:39], s[4:5], 0xa8
	s_load_dwordx4 s[0:3], s[4:5], 0x0
	s_load_dwordx2 s[24:25], s[4:5], 0x10
	v_mul_lo_u32 v6, v2, s26
	v_add_u32_e32 v3, v2, v3
	v_lshrrev_b32_e32 v4, s28, v3
	v_mul_lo_u32 v3, v4, s29
	v_mul_hi_u32 v5, v4, s30
	v_sub_u32_e32 v0, v0, v6
	s_waitcnt lgkmcnt(0)
	v_mov_b32_e32 v11, s1
	v_sub_u32_e32 v7, v2, v3
	v_add_u32_e32 v2, v4, v5
	v_lshrrev_b32_e32 v40, s31, v2
	v_mul_lo_u32 v5, v40, s36
	v_mad_u64_u32 v[2:3], s[26:27], s14, v7, 0
	v_mul_hi_u32 v8, v40, s6
	v_sub_u32_e32 v41, v4, v5
	v_mul_hi_u32 v4, v41, s37
	v_mov_b32_e32 v10, s3
	v_add_u32_e32 v5, v40, v8
	v_add_u32_e32 v4, v41, v4
	v_lshrrev_b32_e32 v4, s38, v4
	v_mul_lo_u32 v6, v4, s39
	v_mad_u64_u32 v[3:4], s[14:15], s15, v7, v[3:4]
	v_lshrrev_b32_e32 v4, s7, v5
	v_mul_lo_u32 v4, v4, s33
	v_sub_u32_e32 v8, v41, v6
	v_mad_u64_u32 v[18:19], s[6:7], s16, v8, 0
	v_sub_u32_e32 v38, v40, v4
	v_mad_u64_u32 v[4:5], s[6:7], s8, v7, 0
	v_mov_b32_e32 v6, v19
	v_mad_u64_u32 v[19:20], s[6:7], s17, v8, v[6:7]
	v_mad_u64_u32 v[5:6], s[6:7], s9, v7, v[5:6]
	;; [unrolled: 1-line block ×3, first 2 shown]
	v_lshlrev_b64 v[4:5], 2, v[4:5]
	v_lshlrev_b64 v[2:3], 3, v[2:3]
	v_mad_u64_u32 v[7:8], s[6:7], s11, v41, v[7:8]
	v_mad_u64_u32 v[8:9], s[6:7], s12, v40, 0
	v_add_co_u32_e32 v12, vcc, s0, v4
	v_addc_co_u32_e32 v11, vcc, v11, v5, vcc
	v_lshlrev_b64 v[4:5], 2, v[6:7]
	v_mov_b32_e32 v6, v9
	v_mad_u64_u32 v[6:7], s[0:1], s13, v40, v[6:7]
	v_add_co_u32_e32 v7, vcc, v12, v4
	v_mov_b32_e32 v9, v6
	v_addc_co_u32_e32 v11, vcc, v11, v5, vcc
	v_lshlrev_b64 v[4:5], 2, v[8:9]
	v_mad_u64_u32 v[20:21], s[6:7], s18, v38, 0
	v_add_co_u32_e32 v6, vcc, v7, v4
	v_addc_co_u32_e32 v7, vcc, v11, v5, vcc
	v_lshlrev_b64 v[4:5], 2, v[0:1]
	v_lshlrev_b64 v[18:19], 3, v[18:19]
	v_add_co_u32_e32 v4, vcc, v6, v4
	v_addc_co_u32_e32 v5, vcc, v7, v5, vcc
	global_load_dwordx4 v[22:25], v[4:5], off
	global_load_dwordx4 v[26:29], v[4:5], off offset:16
	global_load_dwordx4 v[30:33], v[4:5], off offset:32
	;; [unrolled: 1-line block ×3, first 2 shown]
	v_add_co_u32_e32 v42, vcc, s2, v2
	v_addc_co_u32_e32 v43, vcc, v10, v3, vcc
	global_load_dwordx4 v[14:17], v[4:5], off offset:64
	global_load_dwordx4 v[10:13], v[4:5], off offset:80
	v_mov_b32_e32 v2, v21
	v_mad_u64_u32 v[38:39], s[0:1], s19, v38, v[2:3]
	global_load_dwordx4 v[6:9], v[4:5], off offset:96
	s_nop 0
	global_load_dwordx4 v[2:5], v[4:5], off offset:112
	v_add_co_u32_e32 v18, vcc, v42, v18
	v_mov_b32_e32 v21, v38
	v_lshlrev_b64 v[20:21], 3, v[20:21]
	v_addc_co_u32_e32 v19, vcc, v43, v19, vcc
	v_add_co_u32_e32 v18, vcc, v18, v20
	v_addc_co_u32_e32 v19, vcc, v19, v21, vcc
	global_load_dwordx2 v[18:19], v[18:19], off
	s_mov_b32 s6, 0x42fe0000
	v_lshrrev_b32_e32 v0, 5, v0
	s_waitcnt vmcnt(8)
	v_max3_f32 v20, |v22|, 0, |v23|
	v_max3_f32 v20, v20, |v24|, |v25|
	s_waitcnt vmcnt(7)
	v_max3_f32 v20, v20, |v26|, |v27|
	v_max3_f32 v20, v20, |v28|, |v29|
	s_waitcnt vmcnt(6)
	v_max3_f32 v20, v20, |v30|, |v31|
	;; [unrolled: 3-line block ×7, first 2 shown]
	v_max3_f32 v21, v20, |v4|, |v5|
	v_div_scale_f32 v20, s[0:1], s6, s6, v21
	v_div_scale_f32 v38, vcc, v21, s6, v21
	s_waitcnt vmcnt(0)
	v_mul_lo_u32 v39, v19, s20
	v_mul_lo_u32 v42, v18, s21
	v_mad_u64_u32 v[18:19], s[0:1], v18, s20, 0
	s_load_dwordx2 s[0:1], s[4:5], 0x80
	v_add3_u32 v19, v19, v42, v39
	v_rcp_f32_e32 v43, v20
	s_waitcnt lgkmcnt(0)
	v_mad_u64_u32 v[18:19], s[2:3], s0, v40, v[18:19]
	s_mov_b32 s2, 0xf0f0f0f1
	v_fma_f32 v39, -v20, v43, 1.0
	v_fmac_f32_e32 v43, v39, v43
	v_mul_f32_e32 v39, v38, v43
	v_fma_f32 v42, -v20, v39, v38
	v_fmac_f32_e32 v39, v42, v43
	v_fma_f32 v20, -v20, v39, v38
	v_div_fmas_f32 v42, v20, v43, v39
	v_mad_u64_u32 v[19:20], s[0:1], s1, v40, v[19:20]
	v_mov_b32_e32 v39, v1
	v_mad_u64_u32 v[18:19], s[0:1], s22, v41, v[18:19]
	v_mad_u64_u32 v[19:20], s[0:1], s23, v41, v[19:20]
	v_mul_hi_u32 v38, v18, s2
	v_mov_b32_e32 v41, v1
	v_mad_u64_u32 v[38:39], s[0:1], v19, s2, v[38:39]
	v_div_fixup_f32 v20, v42, s6, v21
	v_div_scale_f32 v21, s[0:1], v20, v20, 1.0
	v_div_scale_f32 v1, vcc, 1.0, v20, 1.0
	s_mov_b32 s2, 0xf0f0f0f0
	v_mov_b32_e32 v40, v38
	v_mad_u64_u32 v[40:41], s[0:1], v18, s2, v[40:41]
	v_add_co_u32_e64 v38, s[0:1], v39, v41
	v_addc_co_u32_e64 v39, s[0:1], 0, 0, s[0:1]
	v_mad_u64_u32 v[38:39], s[0:1], v19, s2, v[38:39]
	v_rcp_f32_e32 v18, v21
	v_fma_f32 v19, -v21, v18, 1.0
	v_fmac_f32_e32 v18, v19, v18
	v_mul_f32_e32 v19, v1, v18
	v_fma_f32 v40, -v21, v19, v1
	v_fmac_f32_e32 v19, v40, v18
	v_fma_f32 v1, -v21, v19, v1
	v_div_fmas_f32 v21, v1, v18, v19
	v_alignbit_b32 v1, v39, v38, 5
	v_mad_u64_u32 v[18:19], s[0:1], v1, 34, s[24:25]
	v_lshrrev_b32_e32 v38, 5, v39
	v_cmp_neq_f32_e32 vcc, 0, v20
	v_mov_b32_e32 v1, v19
	v_mad_u64_u32 v[38:39], s[0:1], v38, 34, v[1:2]
	s_brev_b32 s0, -2
	v_mov_b32_e32 v19, v38
	v_div_fixup_f32 v1, v21, v20, 1.0
	v_cndmask_b32_e32 v21, 0, v1, vcc
	v_mul_f32_e32 v38, v22, v21
	v_mul_f32_e32 v22, v24, v21
	;; [unrolled: 1-line block ×12, first 2 shown]
	v_trunc_f32_e32 v35, v27
	v_mul_f32_e32 v30, v33, v21
	v_mul_f32_e32 v31, v34, v21
	;; [unrolled: 1-line block ×4, first 2 shown]
	v_trunc_f32_e32 v36, v28
	v_sub_f32_e32 v37, v27, v35
	v_sub_f32_e32 v40, v28, v36
	v_cmp_ge_f32_e64 s[2:3], |v37|, 0.5
	v_cndmask_b32_e64 v37, 0, 1.0, s[2:3]
	v_cmp_ge_f32_e64 s[2:3], |v40|, 0.5
	v_cndmask_b32_e64 v40, 0, 1.0, s[2:3]
	v_bfi_b32 v27, s0, v37, v27
	v_bfi_b32 v28, s0, v40, v28
	v_add_f32_e32 v27, v35, v27
	v_trunc_f32_e32 v35, v29
	v_add_f32_e32 v28, v36, v28
	v_sub_f32_e32 v36, v29, v35
	v_cmp_ge_f32_e64 s[2:3], |v36|, 0.5
	v_cndmask_b32_e64 v36, 0, 1.0, s[2:3]
	v_bfi_b32 v29, s0, v36, v29
	v_add_f32_e32 v29, v35, v29
	v_trunc_f32_e32 v35, v30
	v_sub_f32_e32 v36, v30, v35
	v_cmp_ge_f32_e64 s[2:3], |v36|, 0.5
	v_cndmask_b32_e64 v36, 0, 1.0, s[2:3]
	v_bfi_b32 v30, s0, v36, v30
	v_add_f32_e32 v30, v35, v30
	v_trunc_f32_e32 v35, v31
	;; [unrolled: 6-line block ×4, first 2 shown]
	v_sub_f32_e32 v36, v33, v35
	v_cmp_ge_f32_e64 s[2:3], |v36|, 0.5
	v_cvt_i32_f32_e32 v27, v27
	v_cvt_i32_f32_sdwa v28, v28 dst_sel:BYTE_1 dst_unused:UNUSED_PAD src0_sel:DWORD
	v_cvt_i32_f32_e32 v29, v29
	v_cvt_i32_f32_sdwa v30, v30 dst_sel:BYTE_1 dst_unused:UNUSED_PAD src0_sel:DWORD
	v_cndmask_b32_e64 v36, 0, 1.0, s[2:3]
	v_bfi_b32 v33, s0, v36, v33
	v_add_f32_e32 v33, v35, v33
	v_trunc_f32_e32 v35, v34
	v_sub_f32_e32 v36, v34, v35
	v_or_b32_sdwa v27, v27, v28 dst_sel:DWORD dst_unused:UNUSED_PAD src0_sel:BYTE_0 src1_sel:DWORD
	v_or_b32_sdwa v28, v29, v30 dst_sel:WORD_1 dst_unused:UNUSED_PAD src0_sel:BYTE_0 src1_sel:DWORD
	v_trunc_f32_e32 v29, v23
	v_cmp_ge_f32_e64 s[2:3], |v36|, 0.5
	v_sub_f32_e32 v30, v23, v29
	v_cndmask_b32_e64 v36, 0, 1.0, s[2:3]
	v_cmp_ge_f32_e64 s[2:3], |v30|, 0.5
	v_cndmask_b32_e64 v30, 0, 1.0, s[2:3]
	v_bfi_b32 v23, s0, v30, v23
	v_add_f32_e32 v23, v29, v23
	v_trunc_f32_e32 v29, v24
	v_sub_f32_e32 v30, v24, v29
	v_cmp_ge_f32_e64 s[2:3], |v30|, 0.5
	v_cndmask_b32_e64 v30, 0, 1.0, s[2:3]
	v_bfi_b32 v24, s0, v30, v24
	v_add_f32_e32 v24, v29, v24
	v_trunc_f32_e32 v29, v25
	v_sub_f32_e32 v30, v25, v29
	;; [unrolled: 6-line block ×3, first 2 shown]
	v_cmp_ge_f32_e64 s[2:3], |v30|, 0.5
	v_cndmask_b32_e64 v30, 0, 1.0, s[2:3]
	v_bfi_b32 v26, s0, v30, v26
	v_add_f32_e32 v26, v29, v26
	v_cvt_i32_f32_e32 v23, v23
	v_cvt_i32_f32_sdwa v29, v24 dst_sel:BYTE_1 dst_unused:UNUSED_PAD src0_sel:DWORD
	v_cvt_i32_f32_e32 v30, v25
	v_cvt_i32_f32_sdwa v26, v26 dst_sel:BYTE_1 dst_unused:UNUSED_PAD src0_sel:DWORD
	v_or_b32_sdwa v24, v27, v28 dst_sel:DWORD dst_unused:UNUSED_PAD src0_sel:WORD_0 src1_sel:DWORD
	v_or_b32_sdwa v23, v23, v29 dst_sel:DWORD dst_unused:UNUSED_PAD src0_sel:BYTE_0 src1_sel:DWORD
	v_mul_f32_e32 v14, v14, v21
	v_or_b32_sdwa v26, v30, v26 dst_sel:WORD_1 dst_unused:UNUSED_PAD src0_sel:BYTE_0 src1_sel:DWORD
	v_or_b32_sdwa v23, v23, v26 dst_sel:DWORD dst_unused:UNUSED_PAD src0_sel:WORD_0 src1_sel:DWORD
	v_trunc_f32_e32 v26, v38
	v_sub_f32_e32 v27, v38, v26
	v_cmp_ge_f32_e64 s[2:3], |v27|, 0.5
	v_cndmask_b32_e64 v27, 0, 1.0, s[2:3]
	v_bfi_b32 v27, s0, v27, v38
	v_add_f32_e32 v26, v26, v27
	v_trunc_f32_e32 v27, v39
	v_sub_f32_e32 v28, v39, v27
	v_cmp_ge_f32_e64 s[2:3], |v28|, 0.5
	v_cndmask_b32_e64 v28, 0, 1.0, s[2:3]
	v_bfi_b32 v28, s0, v28, v39
	v_add_f32_e32 v27, v27, v28
	;; [unrolled: 6-line block ×4, first 2 shown]
	v_cvt_i32_f32_e32 v26, v26
	v_cvt_i32_f32_sdwa v27, v27 dst_sel:BYTE_1 dst_unused:UNUSED_PAD src0_sel:DWORD
	v_cvt_i32_f32_e32 v22, v22
	v_cvt_i32_f32_sdwa v28, v1 dst_sel:BYTE_1 dst_unused:UNUSED_PAD src0_sel:DWORD
	v_mad_u64_u32 v[0:1], s[2:3], v0, 34, v[18:19]
	v_or_b32_sdwa v18, v26, v27 dst_sel:DWORD dst_unused:UNUSED_PAD src0_sel:BYTE_0 src1_sel:DWORD
	v_or_b32_sdwa v19, v22, v28 dst_sel:WORD_1 dst_unused:UNUSED_PAD src0_sel:BYTE_0 src1_sel:DWORD
	v_or_b32_sdwa v22, v18, v19 dst_sel:DWORD dst_unused:UNUSED_PAD src0_sel:WORD_0 src1_sel:DWORD
	v_cvt_f16_f32_e32 v18, v20
	v_mul_f32_e32 v15, v15, v21
	v_mul_f32_e32 v16, v16, v21
	;; [unrolled: 1-line block ×3, first 2 shown]
	global_store_short v[0:1], v18, off
	v_trunc_f32_e32 v18, v14
	v_sub_f32_e32 v19, v14, v18
	v_cmp_ge_f32_e64 s[2:3], |v19|, 0.5
	v_cndmask_b32_e64 v19, 0, 1.0, s[2:3]
	v_bfi_b32 v14, s0, v19, v14
	v_add_f32_e32 v14, v18, v14
	v_trunc_f32_e32 v18, v15
	v_sub_f32_e32 v19, v15, v18
	v_cmp_ge_f32_e64 s[2:3], |v19|, 0.5
	v_cndmask_b32_e64 v19, 0, 1.0, s[2:3]
	v_bfi_b32 v15, s0, v19, v15
	v_add_f32_e32 v15, v18, v15
	;; [unrolled: 6-line block ×3, first 2 shown]
	v_trunc_f32_e32 v18, v17
	v_sub_f32_e32 v19, v17, v18
	v_cmp_ge_f32_e64 s[2:3], |v19|, 0.5
	v_cndmask_b32_e64 v19, 0, 1.0, s[2:3]
	v_mul_f32_e32 v10, v10, v21
	v_bfi_b32 v17, s0, v19, v17
	v_add_f32_e32 v17, v18, v17
	v_trunc_f32_e32 v18, v10
	v_sub_f32_e32 v19, v10, v18
	v_cmp_ge_f32_e64 s[2:3], |v19|, 0.5
	v_cndmask_b32_e64 v19, 0, 1.0, s[2:3]
	v_mul_f32_e32 v11, v11, v21
	v_bfi_b32 v10, s0, v19, v10
	v_add_f32_e32 v10, v18, v10
	;; [unrolled: 7-line block ×8, first 2 shown]
	v_trunc_f32_e32 v18, v9
	v_sub_f32_e32 v19, v9, v18
	v_cmp_ge_f32_e64 s[2:3], |v19|, 0.5
	v_mul_f32_e32 v2, v2, v21
	v_cndmask_b32_e64 v19, 0, 1.0, s[2:3]
	v_bfi_b32 v9, s0, v19, v9
	v_trunc_f32_e32 v19, v2
	v_sub_f32_e32 v20, v2, v19
	v_cmp_ge_f32_e64 s[2:3], |v20|, 0.5
	v_cndmask_b32_e64 v20, 0, 1.0, s[2:3]
	v_mul_f32_e32 v3, v3, v21
	v_bfi_b32 v2, s0, v20, v2
	v_add_f32_e32 v2, v19, v2
	v_trunc_f32_e32 v19, v3
	v_sub_f32_e32 v20, v3, v19
	v_cmp_ge_f32_e64 s[2:3], |v20|, 0.5
	v_cndmask_b32_e64 v20, 0, 1.0, s[2:3]
	v_mul_f32_e32 v4, v4, v21
	v_bfi_b32 v3, s0, v20, v3
	v_add_f32_e32 v3, v19, v3
	;; [unrolled: 7-line block ×3, first 2 shown]
	v_trunc_f32_e32 v19, v5
	v_sub_f32_e32 v20, v5, v19
	v_cmp_ge_f32_e64 s[2:3], |v20|, 0.5
	v_cndmask_b32_e64 v20, 0, 1.0, s[2:3]
	v_bfi_b32 v5, s0, v20, v5
	v_add_f32_e32 v5, v19, v5
	v_cvt_i32_f32_e32 v2, v2
	v_cvt_i32_f32_sdwa v3, v3 dst_sel:BYTE_1 dst_unused:UNUSED_PAD src0_sel:DWORD
	v_cvt_i32_f32_e32 v4, v4
	v_cvt_i32_f32_sdwa v5, v5 dst_sel:BYTE_1 dst_unused:UNUSED_PAD src0_sel:DWORD
	v_add_f32_e32 v9, v18, v9
	v_bfi_b32 v34, s0, v36, v34
	v_cvt_i32_f32_e32 v6, v6
	v_cvt_i32_f32_sdwa v7, v7 dst_sel:BYTE_1 dst_unused:UNUSED_PAD src0_sel:DWORD
	v_cvt_i32_f32_e32 v8, v8
	v_cvt_i32_f32_sdwa v9, v9 dst_sel:BYTE_1 dst_unused:UNUSED_PAD src0_sel:DWORD
	v_add_f32_e32 v34, v35, v34
	v_cvt_i32_f32_e32 v10, v10
	v_cvt_i32_f32_sdwa v11, v11 dst_sel:BYTE_1 dst_unused:UNUSED_PAD src0_sel:DWORD
	v_cvt_i32_f32_e32 v12, v12
	v_cvt_i32_f32_sdwa v13, v13 dst_sel:BYTE_1 dst_unused:UNUSED_PAD src0_sel:DWORD
	;; [unrolled: 2-line block ×6, first 2 shown]
	v_or_b32_sdwa v2, v2, v3 dst_sel:DWORD dst_unused:UNUSED_PAD src0_sel:BYTE_0 src1_sel:DWORD
	v_or_b32_sdwa v3, v4, v5 dst_sel:WORD_1 dst_unused:UNUSED_PAD src0_sel:BYTE_0 src1_sel:DWORD
	v_or_b32_sdwa v5, v2, v3 dst_sel:DWORD dst_unused:UNUSED_PAD src0_sel:WORD_0 src1_sel:DWORD
	v_or_b32_sdwa v2, v6, v7 dst_sel:DWORD dst_unused:UNUSED_PAD src0_sel:BYTE_0 src1_sel:DWORD
	v_or_b32_sdwa v3, v8, v9 dst_sel:WORD_1 dst_unused:UNUSED_PAD src0_sel:BYTE_0 src1_sel:DWORD
	v_or_b32_sdwa v4, v2, v3 dst_sel:DWORD dst_unused:UNUSED_PAD src0_sel:WORD_0 src1_sel:DWORD
	v_or_b32_sdwa v2, v10, v11 dst_sel:DWORD dst_unused:UNUSED_PAD src0_sel:BYTE_0 src1_sel:DWORD
	v_or_b32_sdwa v3, v12, v13 dst_sel:WORD_1 dst_unused:UNUSED_PAD src0_sel:BYTE_0 src1_sel:DWORD
	v_or_b32_sdwa v31, v31, v32 dst_sel:DWORD dst_unused:UNUSED_PAD src0_sel:BYTE_0 src1_sel:DWORD
	v_or_b32_sdwa v32, v33, v34 dst_sel:WORD_1 dst_unused:UNUSED_PAD src0_sel:BYTE_0 src1_sel:DWORD
	v_or_b32_sdwa v3, v2, v3 dst_sel:DWORD dst_unused:UNUSED_PAD src0_sel:WORD_0 src1_sel:DWORD
	v_or_b32_sdwa v2, v14, v15 dst_sel:DWORD dst_unused:UNUSED_PAD src0_sel:BYTE_0 src1_sel:DWORD
	v_or_b32_sdwa v6, v16, v17 dst_sel:WORD_1 dst_unused:UNUSED_PAD src0_sel:BYTE_0 src1_sel:DWORD
	v_or_b32_sdwa v25, v31, v32 dst_sel:DWORD dst_unused:UNUSED_PAD src0_sel:WORD_0 src1_sel:DWORD
	v_or_b32_sdwa v2, v2, v6 dst_sel:DWORD dst_unused:UNUSED_PAD src0_sel:WORD_0 src1_sel:DWORD
	global_store_dwordx4 v[0:1], v[22:25], off offset:2
	global_store_dwordx4 v[0:1], v[2:5], off offset:18
.LBB7_2:
	s_endpgm
	.section	.rodata,"a",@progbits
	.p2align	6, 0x0
	.amdhsa_kernel _ZL16k_set_rows_quantIl10block_q8_0Li32ETnPFvPKfPT0_EXadL_ZL23quantize_f32_q8_0_blockS2_PS0_EEEvS2_PKT_S4_llllllllllllll15HIP_vector_typeIjLj3EESC_SC_SC_SC_
		.amdhsa_group_segment_fixed_size 0
		.amdhsa_private_segment_fixed_size 0
		.amdhsa_kernarg_size 456
		.amdhsa_user_sgpr_count 6
		.amdhsa_user_sgpr_private_segment_buffer 1
		.amdhsa_user_sgpr_dispatch_ptr 0
		.amdhsa_user_sgpr_queue_ptr 0
		.amdhsa_user_sgpr_kernarg_segment_ptr 1
		.amdhsa_user_sgpr_dispatch_id 0
		.amdhsa_user_sgpr_flat_scratch_init 0
		.amdhsa_user_sgpr_private_segment_size 0
		.amdhsa_uses_dynamic_stack 0
		.amdhsa_system_sgpr_private_segment_wavefront_offset 0
		.amdhsa_system_sgpr_workgroup_id_x 1
		.amdhsa_system_sgpr_workgroup_id_y 0
		.amdhsa_system_sgpr_workgroup_id_z 0
		.amdhsa_system_sgpr_workgroup_info 0
		.amdhsa_system_vgpr_workitem_id 0
		.amdhsa_next_free_vgpr 44
		.amdhsa_next_free_sgpr 40
		.amdhsa_reserve_vcc 1
		.amdhsa_reserve_flat_scratch 0
		.amdhsa_float_round_mode_32 0
		.amdhsa_float_round_mode_16_64 0
		.amdhsa_float_denorm_mode_32 3
		.amdhsa_float_denorm_mode_16_64 3
		.amdhsa_dx10_clamp 1
		.amdhsa_ieee_mode 1
		.amdhsa_fp16_overflow 0
		.amdhsa_exception_fp_ieee_invalid_op 0
		.amdhsa_exception_fp_denorm_src 0
		.amdhsa_exception_fp_ieee_div_zero 0
		.amdhsa_exception_fp_ieee_overflow 0
		.amdhsa_exception_fp_ieee_underflow 0
		.amdhsa_exception_fp_ieee_inexact 0
		.amdhsa_exception_int_div_zero 0
	.end_amdhsa_kernel
	.section	.text._ZL16k_set_rows_quantIl10block_q8_0Li32ETnPFvPKfPT0_EXadL_ZL23quantize_f32_q8_0_blockS2_PS0_EEEvS2_PKT_S4_llllllllllllll15HIP_vector_typeIjLj3EESC_SC_SC_SC_,"axG",@progbits,_ZL16k_set_rows_quantIl10block_q8_0Li32ETnPFvPKfPT0_EXadL_ZL23quantize_f32_q8_0_blockS2_PS0_EEEvS2_PKT_S4_llllllllllllll15HIP_vector_typeIjLj3EESC_SC_SC_SC_,comdat
.Lfunc_end7:
	.size	_ZL16k_set_rows_quantIl10block_q8_0Li32ETnPFvPKfPT0_EXadL_ZL23quantize_f32_q8_0_blockS2_PS0_EEEvS2_PKT_S4_llllllllllllll15HIP_vector_typeIjLj3EESC_SC_SC_SC_, .Lfunc_end7-_ZL16k_set_rows_quantIl10block_q8_0Li32ETnPFvPKfPT0_EXadL_ZL23quantize_f32_q8_0_blockS2_PS0_EEEvS2_PKT_S4_llllllllllllll15HIP_vector_typeIjLj3EESC_SC_SC_SC_
                                        ; -- End function
	.set _ZL16k_set_rows_quantIl10block_q8_0Li32ETnPFvPKfPT0_EXadL_ZL23quantize_f32_q8_0_blockS2_PS0_EEEvS2_PKT_S4_llllllllllllll15HIP_vector_typeIjLj3EESC_SC_SC_SC_.num_vgpr, 44
	.set _ZL16k_set_rows_quantIl10block_q8_0Li32ETnPFvPKfPT0_EXadL_ZL23quantize_f32_q8_0_blockS2_PS0_EEEvS2_PKT_S4_llllllllllllll15HIP_vector_typeIjLj3EESC_SC_SC_SC_.num_agpr, 0
	.set _ZL16k_set_rows_quantIl10block_q8_0Li32ETnPFvPKfPT0_EXadL_ZL23quantize_f32_q8_0_blockS2_PS0_EEEvS2_PKT_S4_llllllllllllll15HIP_vector_typeIjLj3EESC_SC_SC_SC_.numbered_sgpr, 40
	.set _ZL16k_set_rows_quantIl10block_q8_0Li32ETnPFvPKfPT0_EXadL_ZL23quantize_f32_q8_0_blockS2_PS0_EEEvS2_PKT_S4_llllllllllllll15HIP_vector_typeIjLj3EESC_SC_SC_SC_.num_named_barrier, 0
	.set _ZL16k_set_rows_quantIl10block_q8_0Li32ETnPFvPKfPT0_EXadL_ZL23quantize_f32_q8_0_blockS2_PS0_EEEvS2_PKT_S4_llllllllllllll15HIP_vector_typeIjLj3EESC_SC_SC_SC_.private_seg_size, 0
	.set _ZL16k_set_rows_quantIl10block_q8_0Li32ETnPFvPKfPT0_EXadL_ZL23quantize_f32_q8_0_blockS2_PS0_EEEvS2_PKT_S4_llllllllllllll15HIP_vector_typeIjLj3EESC_SC_SC_SC_.uses_vcc, 1
	.set _ZL16k_set_rows_quantIl10block_q8_0Li32ETnPFvPKfPT0_EXadL_ZL23quantize_f32_q8_0_blockS2_PS0_EEEvS2_PKT_S4_llllllllllllll15HIP_vector_typeIjLj3EESC_SC_SC_SC_.uses_flat_scratch, 0
	.set _ZL16k_set_rows_quantIl10block_q8_0Li32ETnPFvPKfPT0_EXadL_ZL23quantize_f32_q8_0_blockS2_PS0_EEEvS2_PKT_S4_llllllllllllll15HIP_vector_typeIjLj3EESC_SC_SC_SC_.has_dyn_sized_stack, 0
	.set _ZL16k_set_rows_quantIl10block_q8_0Li32ETnPFvPKfPT0_EXadL_ZL23quantize_f32_q8_0_blockS2_PS0_EEEvS2_PKT_S4_llllllllllllll15HIP_vector_typeIjLj3EESC_SC_SC_SC_.has_recursion, 0
	.set _ZL16k_set_rows_quantIl10block_q8_0Li32ETnPFvPKfPT0_EXadL_ZL23quantize_f32_q8_0_blockS2_PS0_EEEvS2_PKT_S4_llllllllllllll15HIP_vector_typeIjLj3EESC_SC_SC_SC_.has_indirect_call, 0
	.section	.AMDGPU.csdata,"",@progbits
; Kernel info:
; codeLenInByte = 2800
; TotalNumSgprs: 44
; NumVgprs: 44
; ScratchSize: 0
; MemoryBound: 0
; FloatMode: 240
; IeeeMode: 1
; LDSByteSize: 0 bytes/workgroup (compile time only)
; SGPRBlocks: 5
; VGPRBlocks: 10
; NumSGPRsForWavesPerEU: 44
; NumVGPRsForWavesPerEU: 44
; Occupancy: 5
; WaveLimiterHint : 1
; COMPUTE_PGM_RSRC2:SCRATCH_EN: 0
; COMPUTE_PGM_RSRC2:USER_SGPR: 6
; COMPUTE_PGM_RSRC2:TRAP_HANDLER: 0
; COMPUTE_PGM_RSRC2:TGID_X_EN: 1
; COMPUTE_PGM_RSRC2:TGID_Y_EN: 0
; COMPUTE_PGM_RSRC2:TGID_Z_EN: 0
; COMPUTE_PGM_RSRC2:TIDIG_COMP_CNT: 0
	.section	.text._ZL16k_set_rows_quantIl12block_iq4_nlLi32ETnPFvPKfPT0_EXadL_ZL25quantize_f32_iq4_nl_blockS2_PS0_EEEvS2_PKT_S4_llllllllllllll15HIP_vector_typeIjLj3EESC_SC_SC_SC_,"axG",@progbits,_ZL16k_set_rows_quantIl12block_iq4_nlLi32ETnPFvPKfPT0_EXadL_ZL25quantize_f32_iq4_nl_blockS2_PS0_EEEvS2_PKT_S4_llllllllllllll15HIP_vector_typeIjLj3EESC_SC_SC_SC_,comdat
	.globl	_ZL16k_set_rows_quantIl12block_iq4_nlLi32ETnPFvPKfPT0_EXadL_ZL25quantize_f32_iq4_nl_blockS2_PS0_EEEvS2_PKT_S4_llllllllllllll15HIP_vector_typeIjLj3EESC_SC_SC_SC_ ; -- Begin function _ZL16k_set_rows_quantIl12block_iq4_nlLi32ETnPFvPKfPT0_EXadL_ZL25quantize_f32_iq4_nl_blockS2_PS0_EEEvS2_PKT_S4_llllllllllllll15HIP_vector_typeIjLj3EESC_SC_SC_SC_
	.p2align	8
	.type	_ZL16k_set_rows_quantIl12block_iq4_nlLi32ETnPFvPKfPT0_EXadL_ZL25quantize_f32_iq4_nl_blockS2_PS0_EEEvS2_PKT_S4_llllllllllllll15HIP_vector_typeIjLj3EESC_SC_SC_SC_,@function
_ZL16k_set_rows_quantIl12block_iq4_nlLi32ETnPFvPKfPT0_EXadL_ZL25quantize_f32_iq4_nl_blockS2_PS0_EEEvS2_PKT_S4_llllllllllllll15HIP_vector_typeIjLj3EESC_SC_SC_SC_: ; @_ZL16k_set_rows_quantIl12block_iq4_nlLi32ETnPFvPKfPT0_EXadL_ZL25quantize_f32_iq4_nl_blockS2_PS0_EEEvS2_PKT_S4_llllllllllllll15HIP_vector_typeIjLj3EESC_SC_SC_SC_
; %bb.0:
	s_load_dword s2, s[4:5], 0xd4
	s_load_dwordx2 s[0:1], s[4:5], 0x18
	v_mov_b32_e32 v1, 0
	v_mov_b32_e32 v2, s6
	s_waitcnt lgkmcnt(0)
	s_and_b32 s2, s2, 0xffff
	v_mad_u64_u32 v[2:3], s[2:3], s2, v2, v[0:1]
	v_cmp_gt_i64_e32 vcc, s[0:1], v[2:3]
	s_and_saveexec_b64 s[0:1], vcc
	s_cbranch_execz .LBB8_16
; %bb.1:
	s_load_dwordx8 s[24:31], s[4:5], 0x88
	v_lshlrev_b32_e32 v8, 5, v2
	s_waitcnt lgkmcnt(0)
	v_mul_hi_u32 v0, s24, v8
	v_add_u32_e32 v0, v8, v0
	v_lshrrev_b32_e32 v0, s25, v0
	v_mul_hi_u32 v2, v0, s27
	s_load_dwordx4 s[0:3], s[4:5], 0x0
	s_load_dwordx2 s[6:7], s[4:5], 0x10
	s_load_dwordx16 s[8:23], s[4:5], 0x40
	s_load_dword s27, s[4:5], 0xc0
	s_load_dwordx2 s[24:25], s[4:5], 0xb8
	s_load_dwordx4 s[36:39], s[4:5], 0xa8
	v_mul_lo_u32 v10, v0, s26
	v_add_u32_e32 v2, v0, v2
	v_lshrrev_b32_e32 v5, s28, v2
	v_mul_lo_u32 v2, v5, s29
	v_mul_hi_u32 v3, v5, s30
	v_sub_u32_e32 v9, v0, v2
	v_add_u32_e32 v2, v5, v3
	v_lshrrev_b32_e32 v4, s31, v2
	s_waitcnt lgkmcnt(0)
	v_mul_lo_u32 v6, v4, s36
	v_mad_u64_u32 v[2:3], s[28:29], s14, v9, 0
	v_mul_hi_u32 v7, v4, s24
	v_sub_u32_e32 v5, v5, v6
	v_mul_hi_u32 v11, v5, s37
	v_mov_b32_e32 v0, v3
	v_add_u32_e32 v3, v4, v7
	v_mad_u64_u32 v[6:7], s[14:15], s15, v9, v[0:1]
	v_lshrrev_b32_e32 v0, s25, v3
	v_mul_lo_u32 v7, v0, s27
	v_add_u32_e32 v0, v5, v11
	v_lshrrev_b32_e32 v0, s38, v0
	v_mul_lo_u32 v11, v0, s39
	v_mov_b32_e32 v3, v6
	v_lshlrev_b64 v[2:3], 3, v[2:3]
	v_sub_u32_e32 v0, v8, v10
	v_sub_u32_e32 v10, v5, v11
	v_mov_b32_e32 v6, s3
	v_mad_u64_u32 v[14:15], s[14:15], s16, v10, 0
	v_add_co_u32_e32 v18, vcc, s2, v2
	v_sub_u32_e32 v8, v4, v7
	v_addc_co_u32_e32 v19, vcc, v6, v3, vcc
	v_mad_u64_u32 v[6:7], s[2:3], s8, v9, 0
	v_mov_b32_e32 v2, v15
	v_mad_u64_u32 v[10:11], s[2:3], s17, v10, v[2:3]
	v_mov_b32_e32 v2, v7
	v_mad_u64_u32 v[16:17], s[2:3], s18, v8, 0
	v_mad_u64_u32 v[2:3], s[2:3], s9, v9, v[2:3]
	v_mov_b32_e32 v3, v17
	v_mad_u64_u32 v[11:12], s[2:3], s19, v8, v[3:4]
	v_mov_b32_e32 v7, v2
	v_lshlrev_b64 v[2:3], 2, v[6:7]
	v_mad_u64_u32 v[6:7], s[2:3], s10, v5, 0
	v_mov_b32_e32 v8, s1
	v_add_co_u32_e32 v9, vcc, s0, v2
	v_mov_b32_e32 v2, v7
	v_addc_co_u32_e32 v8, vcc, v8, v3, vcc
	v_mad_u64_u32 v[2:3], s[0:1], s11, v5, v[2:3]
	v_mov_b32_e32 v15, v10
	v_mov_b32_e32 v17, v11
	;; [unrolled: 1-line block ×3, first 2 shown]
	v_lshlrev_b64 v[2:3], 2, v[6:7]
	v_mad_u64_u32 v[6:7], s[0:1], s12, v4, 0
	v_add_co_u32_e32 v9, vcc, v9, v2
	v_mov_b32_e32 v2, v7
	v_addc_co_u32_e32 v8, vcc, v8, v3, vcc
	v_mad_u64_u32 v[2:3], s[0:1], s13, v4, v[2:3]
	v_lshlrev_b64 v[14:15], 3, v[14:15]
	v_lshlrev_b64 v[16:17], 3, v[16:17]
	v_mov_b32_e32 v7, v2
	v_lshlrev_b64 v[2:3], 2, v[6:7]
	s_mov_b32 s10, 0xc2fe0000
	v_add_co_u32_e32 v6, vcc, v9, v2
	v_addc_co_u32_e32 v7, vcc, v8, v3, vcc
	v_lshlrev_b64 v[2:3], 2, v[0:1]
	v_lshrrev_b32_e32 v0, 5, v0
	v_add_co_u32_e32 v2, vcc, v6, v2
	v_addc_co_u32_e32 v3, vcc, v7, v3, vcc
	global_load_dwordx4 v[6:9], v[2:3], off
	global_load_dwordx4 v[10:13], v[2:3], off offset:16
	v_add_co_u32_e32 v14, vcc, v18, v14
	v_addc_co_u32_e32 v15, vcc, v19, v15, vcc
	v_add_co_u32_e32 v14, vcc, v14, v16
	v_addc_co_u32_e32 v15, vcc, v15, v17, vcc
	s_mov_b32 s11, 0x42e20000
	s_waitcnt vmcnt(1)
	v_cmp_lg_f32_e32 vcc, 0, v6
	v_cndmask_b32_e32 v16, 0, v6, vcc
	v_cndmask_b32_e64 v6, 0, |v6|, vcc
	v_cmp_lt_f32_e64 vcc, v6, |v7|
	v_cndmask_b32_e64 v6, v6, |v7|, vcc
	v_cndmask_b32_e32 v16, v16, v7, vcc
	v_cmp_lt_f32_e64 vcc, v6, |v8|
	v_cndmask_b32_e64 v6, v6, |v8|, vcc
	v_cndmask_b32_e32 v7, v16, v8, vcc
	v_cmp_lt_f32_e64 vcc, v6, |v9|
	v_cndmask_b32_e32 v16, v7, v9, vcc
	v_cndmask_b32_e64 v17, v6, |v9|, vcc
	global_load_dwordx4 v[6:9], v[2:3], off offset:32
	s_waitcnt vmcnt(1)
	v_cmp_lt_f32_e64 vcc, v17, |v10|
	v_cndmask_b32_e32 v16, v16, v10, vcc
	v_cndmask_b32_e64 v10, v17, |v10|, vcc
	v_cmp_lt_f32_e64 vcc, v10, |v11|
	v_cndmask_b32_e64 v10, v10, |v11|, vcc
	v_cndmask_b32_e32 v16, v16, v11, vcc
	v_cmp_lt_f32_e64 vcc, v10, |v12|
	v_cndmask_b32_e64 v10, v10, |v12|, vcc
	v_cndmask_b32_e32 v11, v16, v12, vcc
	v_cmp_lt_f32_e64 vcc, v10, |v13|
	v_cndmask_b32_e32 v16, v11, v13, vcc
	v_cndmask_b32_e64 v17, v10, |v13|, vcc
	global_load_dwordx4 v[10:13], v[2:3], off offset:48
	s_waitcnt vmcnt(1)
	v_cmp_lt_f32_e64 vcc, v17, |v6|
	v_cndmask_b32_e32 v16, v16, v6, vcc
	v_cndmask_b32_e64 v6, v17, |v6|, vcc
	v_cmp_lt_f32_e64 vcc, v6, |v7|
	v_cndmask_b32_e64 v6, v6, |v7|, vcc
	v_cndmask_b32_e32 v16, v16, v7, vcc
	v_cmp_lt_f32_e64 vcc, v6, |v8|
	v_cndmask_b32_e64 v6, v6, |v8|, vcc
	v_cndmask_b32_e32 v7, v16, v8, vcc
	v_cmp_lt_f32_e64 vcc, v6, |v9|
	v_cndmask_b32_e32 v16, v7, v9, vcc
	v_cndmask_b32_e64 v17, v6, |v9|, vcc
	global_load_dwordx4 v[6:9], v[2:3], off offset:64
	s_waitcnt vmcnt(1)
	v_cmp_lt_f32_e64 vcc, v17, |v10|
	v_cndmask_b32_e32 v16, v16, v10, vcc
	v_cndmask_b32_e64 v10, v17, |v10|, vcc
	v_cmp_lt_f32_e64 vcc, v10, |v11|
	v_cndmask_b32_e64 v10, v10, |v11|, vcc
	v_cndmask_b32_e32 v16, v16, v11, vcc
	v_cmp_lt_f32_e64 vcc, v10, |v12|
	v_cndmask_b32_e64 v10, v10, |v12|, vcc
	v_cndmask_b32_e32 v11, v16, v12, vcc
	v_cmp_lt_f32_e64 vcc, v10, |v13|
	v_cndmask_b32_e32 v16, v11, v13, vcc
	v_cndmask_b32_e64 v17, v10, |v13|, vcc
	global_load_dwordx4 v[10:13], v[2:3], off offset:80
	s_waitcnt vmcnt(1)
	v_cmp_lt_f32_e64 vcc, v17, |v6|
	v_cndmask_b32_e32 v16, v16, v6, vcc
	v_cndmask_b32_e64 v6, v17, |v6|, vcc
	v_cmp_lt_f32_e64 vcc, v6, |v7|
	v_cndmask_b32_e64 v6, v6, |v7|, vcc
	v_cndmask_b32_e32 v16, v16, v7, vcc
	v_cmp_lt_f32_e64 vcc, v6, |v8|
	v_cndmask_b32_e64 v6, v6, |v8|, vcc
	v_cndmask_b32_e32 v7, v16, v8, vcc
	v_cmp_lt_f32_e64 vcc, v6, |v9|
	v_cndmask_b32_e32 v16, v7, v9, vcc
	v_cndmask_b32_e64 v17, v6, |v9|, vcc
	global_load_dwordx4 v[6:9], v[2:3], off offset:96
	s_waitcnt vmcnt(1)
	v_cmp_lt_f32_e64 vcc, v17, |v10|
	v_cndmask_b32_e32 v16, v16, v10, vcc
	v_cndmask_b32_e64 v10, v17, |v10|, vcc
	v_cmp_lt_f32_e64 vcc, v10, |v11|
	v_cndmask_b32_e64 v10, v10, |v11|, vcc
	v_cndmask_b32_e32 v16, v16, v11, vcc
	v_cmp_lt_f32_e64 vcc, v10, |v12|
	v_cndmask_b32_e64 v10, v10, |v12|, vcc
	v_cndmask_b32_e32 v11, v16, v12, vcc
	v_cmp_lt_f32_e64 vcc, v10, |v13|
	v_cndmask_b32_e32 v18, v11, v13, vcc
	v_cndmask_b32_e64 v19, v10, |v13|, vcc
	global_load_dwordx4 v[10:13], v[2:3], off offset:112
	global_load_dwordx2 v[16:17], v[14:15], off
	s_waitcnt vmcnt(2)
	v_cmp_lt_f32_e64 vcc, v19, |v6|
	v_cndmask_b32_e32 v14, v18, v6, vcc
	v_cndmask_b32_e64 v6, v19, |v6|, vcc
	v_cmp_lt_f32_e64 vcc, v6, |v7|
	v_cndmask_b32_e64 v6, v6, |v7|, vcc
	v_cndmask_b32_e32 v14, v14, v7, vcc
	v_cmp_lt_f32_e64 vcc, v6, |v8|
	v_cndmask_b32_e64 v6, v6, |v8|, vcc
	v_cndmask_b32_e32 v7, v14, v8, vcc
	;; [unrolled: 3-line block ×3, first 2 shown]
	s_waitcnt vmcnt(1)
	v_cmp_lt_f32_e64 vcc, v6, |v10|
	v_cndmask_b32_e64 v6, v6, |v10|, vcc
	v_cndmask_b32_e32 v7, v7, v10, vcc
	v_cmp_lt_f32_e64 vcc, v6, |v11|
	v_cndmask_b32_e64 v6, v6, |v11|, vcc
	v_cndmask_b32_e32 v7, v7, v11, vcc
	;; [unrolled: 3-line block ×3, first 2 shown]
	v_cmp_lt_f32_e64 vcc, v6, |v13|
	v_cndmask_b32_e32 v10, v7, v13, vcc
	v_div_scale_f32 v9, s[0:1], s10, s10, v10
	v_div_scale_f32 v12, vcc, v10, s10, v10
	s_waitcnt vmcnt(0)
	v_mad_u64_u32 v[6:7], s[0:1], v16, s20, 0
	v_mul_lo_u32 v8, v17, s20
	v_mul_lo_u32 v11, v16, s21
	s_load_dwordx2 s[0:1], s[4:5], 0x80
	v_add3_u32 v7, v7, v11, v8
	s_waitcnt lgkmcnt(0)
	v_mad_u64_u32 v[6:7], s[2:3], s0, v4, v[6:7]
	s_mov_b32 s2, 0xe38e38e3
	v_rcp_f32_e32 v11, v9
	v_mad_u64_u32 v[7:8], s[0:1], s1, v4, v[7:8]
	v_fma_f32 v4, -v9, v11, 1.0
	v_fmac_f32_e32 v11, v4, v11
	v_mul_f32_e32 v4, v12, v11
	v_fma_f32 v8, -v9, v4, v12
	v_fmac_f32_e32 v4, v8, v11
	v_fma_f32 v8, -v9, v4, v12
	v_div_fmas_f32 v11, v8, v11, v4
	v_mad_u64_u32 v[7:8], s[0:1], s22, v5, v[6:7]
	v_mov_b32_e32 v6, v1
	v_mov_b32_e32 v4, v8
	v_mad_u64_u32 v[4:5], s[0:1], s23, v5, v[4:5]
	s_mov_b32 s0, 0x8e38e38f
	v_mul_hi_u32 v5, v7, s0
	v_mad_u64_u32 v[8:9], s[0:1], v4, s0, v[5:6]
	v_div_fixup_f32 v6, v11, s10, v10
	v_div_scale_f32 v12, s[0:1], v6, v6, 1.0
	v_div_scale_f32 v13, vcc, 1.0, v6, 1.0
	v_mov_b32_e32 v10, v8
	v_mov_b32_e32 v11, v1
	v_mad_u64_u32 v[7:8], s[0:1], v7, s2, v[10:11]
	v_add_co_u32_e64 v7, s[0:1], v9, v8
	v_addc_co_u32_e64 v8, s[0:1], 0, 0, s[0:1]
	v_mad_u64_u32 v[4:5], s[0:1], v4, s2, v[7:8]
	v_rcp_f32_e32 v7, v12
	v_alignbit_b32 v4, v5, v4, 4
	v_lshrrev_b32_e32 v5, 4, v5
	v_fma_f32 v8, -v12, v7, 1.0
	v_fmac_f32_e32 v7, v8, v7
	v_mul_f32_e32 v8, v13, v7
	v_fma_f32 v9, -v12, v8, v13
	v_fmac_f32_e32 v8, v9, v7
	v_fma_f32 v9, -v12, v8, v13
	v_div_fmas_f32 v9, v9, v7, v8
	v_mad_u64_u32 v[7:8], s[0:1], v4, 18, s[6:7]
	v_cmp_neq_f32_e32 vcc, 0, v6
	v_mov_b32_e32 v4, v8
	v_mad_u64_u32 v[4:5], s[0:1], v5, 18, v[4:5]
	s_mov_b32 s1, 0
	s_mov_b32 s0, s1
	v_mov_b32_e32 v8, v4
	v_mad_u64_u32 v[4:5], s[2:3], v0, 18, v[7:8]
	v_div_fixup_f32 v0, v9, v6, 1.0
	v_cndmask_b32_e32 v7, 0, v0, vcc
	v_mov_b32_e32 v0, 0
	s_branch .LBB8_4
.LBB8_2:                                ;   in Loop: Header=BB8_4 Depth=1
	s_or_b64 exec, exec, s[4:5]
.LBB8_3:                                ;   in Loop: Header=BB8_4 Depth=1
	s_or_b64 exec, exec, s[2:3]
	v_and_b32_e32 v12, 0xff, v11
	s_getpc_b64 s[2:3]
	s_add_u32 s2, s2, _ZL13kvalues_iq4nl@rel32@lo+4
	s_addc_u32 s3, s3, _ZL13kvalues_iq4nl@rel32@hi+12
	v_and_b32_e32 v13, 0xff, v10
	global_load_sbyte v14, v12, s[2:3]
	global_load_sbyte v15, v13, s[2:3]
	v_lshl_or_b32 v12, v10, 4, v11
	v_add_co_u32_e32 v10, vcc, s0, v4
	v_addc_co_u32_e32 v11, vcc, 0, v5, vcc
	v_mul_f32_e32 v16, v9, v9
	v_mul_f32_e32 v13, v8, v8
	global_store_byte v[10:11], v12, off offset:2
	s_add_i32 s0, s0, 1
	s_cmp_lg_u32 s0, 16
	s_waitcnt vmcnt(2)
	v_cvt_f32_i32_e32 v14, v14
	s_waitcnt vmcnt(1)
	v_cvt_f32_i32_e32 v15, v15
	v_mul_f32_e32 v10, v13, v14
	v_mul_f32_e32 v11, v16, v15
	;; [unrolled: 1-line block ×4, first 2 shown]
	v_fmac_f32_e32 v9, v8, v10
	v_fmac_f32_e32 v11, v10, v14
	v_add_f32_e32 v1, v1, v9
	v_add_f32_e32 v0, v0, v11
	s_cbranch_scc0 .LBB8_15
.LBB8_4:                                ; =>This Loop Header: Depth=1
                                        ;     Child Loop BB8_7 Depth 2
                                        ;     Child Loop BB8_13 Depth 2
	s_lshl_b64 s[2:3], s[0:1], 2
	v_mov_b32_e32 v8, s3
	v_add_co_u32_e32 v10, vcc, s2, v2
	v_addc_co_u32_e32 v11, vcc, v3, v8, vcc
	global_load_dword v8, v[10:11], off
	global_load_dword v9, v[10:11], off offset:64
	v_mov_b32_e32 v10, 0
	v_mov_b32_e32 v11, 0
	s_waitcnt vmcnt(1)
	v_mul_f32_e32 v12, v7, v8
	v_cmp_nge_f32_e32 vcc, s10, v12
	s_and_saveexec_b64 s[2:3], vcc
	s_cbranch_execz .LBB8_10
; %bb.5:                                ;   in Loop: Header=BB8_4 Depth=1
	v_cmp_nle_f32_e32 vcc, s11, v12
	v_mov_b32_e32 v11, 15
	s_and_saveexec_b64 s[4:5], vcc
	s_cbranch_execz .LBB8_9
; %bb.6:                                ;   in Loop: Header=BB8_4 Depth=1
	v_mov_b32_e32 v13, 0
	v_mov_b32_e32 v11, 15
	s_mov_b64 s[6:7], 0
.LBB8_7:                                ;   Parent Loop BB8_4 Depth=1
                                        ; =>  This Inner Loop Header: Depth=2
	v_add_u32_e32 v14, v13, v11
	v_lshrrev_b32_e32 v15, 31, v14
	v_add_u32_e32 v14, v14, v15
	s_getpc_b64 s[8:9]
	s_add_u32 s8, s8, _ZL13kvalues_iq4nl@rel32@lo+4
	s_addc_u32 s9, s9, _ZL13kvalues_iq4nl@rel32@hi+12
	v_ashrrev_i32_e32 v17, 1, v14
	v_mov_b32_e32 v16, s9
	v_ashrrev_i32_e32 v15, 31, v17
	v_add_co_u32_e32 v14, vcc, s8, v17
	v_addc_co_u32_e32 v15, vcc, v16, v15, vcc
	global_load_sbyte v14, v[14:15], off
	s_waitcnt vmcnt(0)
	v_cvt_f32_i32_e32 v14, v14
	v_cmp_lt_f32_e32 vcc, v12, v14
	v_cndmask_b32_e32 v13, v17, v13, vcc
	v_cndmask_b32_e32 v11, v11, v17, vcc
	v_sub_u32_e32 v14, v11, v13
	v_cmp_gt_i32_e32 vcc, 2, v14
	s_or_b64 s[6:7], vcc, s[6:7]
	s_andn2_b64 exec, exec, s[6:7]
	s_cbranch_execnz .LBB8_7
; %bb.8:                                ;   in Loop: Header=BB8_4 Depth=1
	s_or_b64 exec, exec, s[6:7]
	v_add_u32_e32 v17, -1, v11
	v_ashrrev_i32_e32 v14, 31, v17
	v_mov_b32_e32 v16, s9
	v_add_co_u32_e32 v13, vcc, s8, v17
	v_addc_co_u32_e32 v14, vcc, v16, v14, vcc
	v_ashrrev_i32_e32 v18, 31, v11
	v_add_co_u32_e32 v15, vcc, s8, v11
	v_addc_co_u32_e32 v16, vcc, v16, v18, vcc
	global_load_sbyte v18, v[13:14], off
	global_load_sbyte v19, v[15:16], off
	s_waitcnt vmcnt(1)
	v_cvt_f32_i32_e32 v13, v18
	s_waitcnt vmcnt(0)
	v_cvt_f32_i32_e32 v14, v19
	v_sub_f32_e32 v13, v12, v13
	v_sub_f32_e32 v12, v14, v12
	v_cmp_lt_f32_e32 vcc, v13, v12
	v_cndmask_b32_e32 v11, v11, v17, vcc
.LBB8_9:                                ;   in Loop: Header=BB8_4 Depth=1
	s_or_b64 exec, exec, s[4:5]
.LBB8_10:                               ;   in Loop: Header=BB8_4 Depth=1
	s_or_b64 exec, exec, s[2:3]
	s_waitcnt vmcnt(0)
	v_mul_f32_e32 v12, v7, v9
	v_cmp_nge_f32_e32 vcc, s10, v12
	s_and_saveexec_b64 s[2:3], vcc
	s_cbranch_execz .LBB8_3
; %bb.11:                               ;   in Loop: Header=BB8_4 Depth=1
	v_cmp_nle_f32_e32 vcc, s11, v12
	v_mov_b32_e32 v10, 15
	s_and_saveexec_b64 s[4:5], vcc
	s_cbranch_execz .LBB8_2
; %bb.12:                               ;   in Loop: Header=BB8_4 Depth=1
	v_mov_b32_e32 v13, 0
	v_mov_b32_e32 v10, 15
	s_mov_b64 s[6:7], 0
.LBB8_13:                               ;   Parent Loop BB8_4 Depth=1
                                        ; =>  This Inner Loop Header: Depth=2
	v_add_u32_e32 v14, v13, v10
	v_lshrrev_b32_e32 v15, 31, v14
	v_add_u32_e32 v14, v14, v15
	s_getpc_b64 s[8:9]
	s_add_u32 s8, s8, _ZL13kvalues_iq4nl@rel32@lo+4
	s_addc_u32 s9, s9, _ZL13kvalues_iq4nl@rel32@hi+12
	v_ashrrev_i32_e32 v17, 1, v14
	v_mov_b32_e32 v16, s9
	v_ashrrev_i32_e32 v15, 31, v17
	v_add_co_u32_e32 v14, vcc, s8, v17
	v_addc_co_u32_e32 v15, vcc, v16, v15, vcc
	global_load_sbyte v14, v[14:15], off
	s_waitcnt vmcnt(0)
	v_cvt_f32_i32_e32 v14, v14
	v_cmp_lt_f32_e32 vcc, v12, v14
	v_cndmask_b32_e32 v13, v17, v13, vcc
	v_cndmask_b32_e32 v10, v10, v17, vcc
	v_sub_u32_e32 v14, v10, v13
	v_cmp_gt_i32_e32 vcc, 2, v14
	s_or_b64 s[6:7], vcc, s[6:7]
	s_andn2_b64 exec, exec, s[6:7]
	s_cbranch_execnz .LBB8_13
; %bb.14:                               ;   in Loop: Header=BB8_4 Depth=1
	s_or_b64 exec, exec, s[6:7]
	v_add_u32_e32 v17, -1, v10
	v_ashrrev_i32_e32 v14, 31, v17
	v_mov_b32_e32 v16, s9
	v_add_co_u32_e32 v13, vcc, s8, v17
	v_addc_co_u32_e32 v14, vcc, v16, v14, vcc
	v_ashrrev_i32_e32 v18, 31, v10
	v_add_co_u32_e32 v15, vcc, s8, v10
	v_addc_co_u32_e32 v16, vcc, v16, v18, vcc
	global_load_sbyte v18, v[13:14], off
	global_load_sbyte v19, v[15:16], off
	s_waitcnt vmcnt(1)
	v_cvt_f32_i32_e32 v13, v18
	s_waitcnt vmcnt(0)
	v_cvt_f32_i32_e32 v14, v19
	v_sub_f32_e32 v13, v12, v13
	v_sub_f32_e32 v12, v14, v12
	v_cmp_lt_f32_e32 vcc, v13, v12
	v_cndmask_b32_e32 v10, v10, v17, vcc
	s_branch .LBB8_2
.LBB8_15:
	v_div_scale_f32 v2, s[0:1], v0, v0, v1
	v_div_scale_f32 v3, vcc, v1, v0, v1
	v_rcp_f32_e32 v7, v2
	v_fma_f32 v8, -v2, v7, 1.0
	v_fmac_f32_e32 v7, v8, v7
	v_mul_f32_e32 v8, v3, v7
	v_fma_f32 v9, -v2, v8, v3
	v_fmac_f32_e32 v8, v9, v7
	v_fma_f32 v2, -v2, v8, v3
	v_div_fmas_f32 v2, v2, v7, v8
	v_cmp_lt_f32_e32 vcc, 0, v0
	v_div_fixup_f32 v1, v2, v0, v1
	v_cndmask_b32_e32 v0, v6, v1, vcc
	v_cvt_f16_f32_e32 v0, v0
	global_store_short v[4:5], v0, off
.LBB8_16:
	s_endpgm
	.section	.rodata,"a",@progbits
	.p2align	6, 0x0
	.amdhsa_kernel _ZL16k_set_rows_quantIl12block_iq4_nlLi32ETnPFvPKfPT0_EXadL_ZL25quantize_f32_iq4_nl_blockS2_PS0_EEEvS2_PKT_S4_llllllllllllll15HIP_vector_typeIjLj3EESC_SC_SC_SC_
		.amdhsa_group_segment_fixed_size 0
		.amdhsa_private_segment_fixed_size 0
		.amdhsa_kernarg_size 456
		.amdhsa_user_sgpr_count 6
		.amdhsa_user_sgpr_private_segment_buffer 1
		.amdhsa_user_sgpr_dispatch_ptr 0
		.amdhsa_user_sgpr_queue_ptr 0
		.amdhsa_user_sgpr_kernarg_segment_ptr 1
		.amdhsa_user_sgpr_dispatch_id 0
		.amdhsa_user_sgpr_flat_scratch_init 0
		.amdhsa_user_sgpr_private_segment_size 0
		.amdhsa_uses_dynamic_stack 0
		.amdhsa_system_sgpr_private_segment_wavefront_offset 0
		.amdhsa_system_sgpr_workgroup_id_x 1
		.amdhsa_system_sgpr_workgroup_id_y 0
		.amdhsa_system_sgpr_workgroup_id_z 0
		.amdhsa_system_sgpr_workgroup_info 0
		.amdhsa_system_vgpr_workitem_id 0
		.amdhsa_next_free_vgpr 20
		.amdhsa_next_free_sgpr 40
		.amdhsa_reserve_vcc 1
		.amdhsa_reserve_flat_scratch 0
		.amdhsa_float_round_mode_32 0
		.amdhsa_float_round_mode_16_64 0
		.amdhsa_float_denorm_mode_32 3
		.amdhsa_float_denorm_mode_16_64 3
		.amdhsa_dx10_clamp 1
		.amdhsa_ieee_mode 1
		.amdhsa_fp16_overflow 0
		.amdhsa_exception_fp_ieee_invalid_op 0
		.amdhsa_exception_fp_denorm_src 0
		.amdhsa_exception_fp_ieee_div_zero 0
		.amdhsa_exception_fp_ieee_overflow 0
		.amdhsa_exception_fp_ieee_underflow 0
		.amdhsa_exception_fp_ieee_inexact 0
		.amdhsa_exception_int_div_zero 0
	.end_amdhsa_kernel
	.section	.text._ZL16k_set_rows_quantIl12block_iq4_nlLi32ETnPFvPKfPT0_EXadL_ZL25quantize_f32_iq4_nl_blockS2_PS0_EEEvS2_PKT_S4_llllllllllllll15HIP_vector_typeIjLj3EESC_SC_SC_SC_,"axG",@progbits,_ZL16k_set_rows_quantIl12block_iq4_nlLi32ETnPFvPKfPT0_EXadL_ZL25quantize_f32_iq4_nl_blockS2_PS0_EEEvS2_PKT_S4_llllllllllllll15HIP_vector_typeIjLj3EESC_SC_SC_SC_,comdat
.Lfunc_end8:
	.size	_ZL16k_set_rows_quantIl12block_iq4_nlLi32ETnPFvPKfPT0_EXadL_ZL25quantize_f32_iq4_nl_blockS2_PS0_EEEvS2_PKT_S4_llllllllllllll15HIP_vector_typeIjLj3EESC_SC_SC_SC_, .Lfunc_end8-_ZL16k_set_rows_quantIl12block_iq4_nlLi32ETnPFvPKfPT0_EXadL_ZL25quantize_f32_iq4_nl_blockS2_PS0_EEEvS2_PKT_S4_llllllllllllll15HIP_vector_typeIjLj3EESC_SC_SC_SC_
                                        ; -- End function
	.set _ZL16k_set_rows_quantIl12block_iq4_nlLi32ETnPFvPKfPT0_EXadL_ZL25quantize_f32_iq4_nl_blockS2_PS0_EEEvS2_PKT_S4_llllllllllllll15HIP_vector_typeIjLj3EESC_SC_SC_SC_.num_vgpr, 20
	.set _ZL16k_set_rows_quantIl12block_iq4_nlLi32ETnPFvPKfPT0_EXadL_ZL25quantize_f32_iq4_nl_blockS2_PS0_EEEvS2_PKT_S4_llllllllllllll15HIP_vector_typeIjLj3EESC_SC_SC_SC_.num_agpr, 0
	.set _ZL16k_set_rows_quantIl12block_iq4_nlLi32ETnPFvPKfPT0_EXadL_ZL25quantize_f32_iq4_nl_blockS2_PS0_EEEvS2_PKT_S4_llllllllllllll15HIP_vector_typeIjLj3EESC_SC_SC_SC_.numbered_sgpr, 40
	.set _ZL16k_set_rows_quantIl12block_iq4_nlLi32ETnPFvPKfPT0_EXadL_ZL25quantize_f32_iq4_nl_blockS2_PS0_EEEvS2_PKT_S4_llllllllllllll15HIP_vector_typeIjLj3EESC_SC_SC_SC_.num_named_barrier, 0
	.set _ZL16k_set_rows_quantIl12block_iq4_nlLi32ETnPFvPKfPT0_EXadL_ZL25quantize_f32_iq4_nl_blockS2_PS0_EEEvS2_PKT_S4_llllllllllllll15HIP_vector_typeIjLj3EESC_SC_SC_SC_.private_seg_size, 0
	.set _ZL16k_set_rows_quantIl12block_iq4_nlLi32ETnPFvPKfPT0_EXadL_ZL25quantize_f32_iq4_nl_blockS2_PS0_EEEvS2_PKT_S4_llllllllllllll15HIP_vector_typeIjLj3EESC_SC_SC_SC_.uses_vcc, 1
	.set _ZL16k_set_rows_quantIl12block_iq4_nlLi32ETnPFvPKfPT0_EXadL_ZL25quantize_f32_iq4_nl_blockS2_PS0_EEEvS2_PKT_S4_llllllllllllll15HIP_vector_typeIjLj3EESC_SC_SC_SC_.uses_flat_scratch, 0
	.set _ZL16k_set_rows_quantIl12block_iq4_nlLi32ETnPFvPKfPT0_EXadL_ZL25quantize_f32_iq4_nl_blockS2_PS0_EEEvS2_PKT_S4_llllllllllllll15HIP_vector_typeIjLj3EESC_SC_SC_SC_.has_dyn_sized_stack, 0
	.set _ZL16k_set_rows_quantIl12block_iq4_nlLi32ETnPFvPKfPT0_EXadL_ZL25quantize_f32_iq4_nl_blockS2_PS0_EEEvS2_PKT_S4_llllllllllllll15HIP_vector_typeIjLj3EESC_SC_SC_SC_.has_recursion, 0
	.set _ZL16k_set_rows_quantIl12block_iq4_nlLi32ETnPFvPKfPT0_EXadL_ZL25quantize_f32_iq4_nl_blockS2_PS0_EEEvS2_PKT_S4_llllllllllllll15HIP_vector_typeIjLj3EESC_SC_SC_SC_.has_indirect_call, 0
	.section	.AMDGPU.csdata,"",@progbits
; Kernel info:
; codeLenInByte = 2416
; TotalNumSgprs: 44
; NumVgprs: 20
; ScratchSize: 0
; MemoryBound: 0
; FloatMode: 240
; IeeeMode: 1
; LDSByteSize: 0 bytes/workgroup (compile time only)
; SGPRBlocks: 5
; VGPRBlocks: 4
; NumSGPRsForWavesPerEU: 44
; NumVGPRsForWavesPerEU: 20
; Occupancy: 10
; WaveLimiterHint : 1
; COMPUTE_PGM_RSRC2:SCRATCH_EN: 0
; COMPUTE_PGM_RSRC2:USER_SGPR: 6
; COMPUTE_PGM_RSRC2:TRAP_HANDLER: 0
; COMPUTE_PGM_RSRC2:TGID_X_EN: 1
; COMPUTE_PGM_RSRC2:TGID_Y_EN: 0
; COMPUTE_PGM_RSRC2:TGID_Z_EN: 0
; COMPUTE_PGM_RSRC2:TIDIG_COMP_CNT: 0
	.section	.text._ZL10k_set_rowsIfifEvPKT_PKT0_PT1_llllllllllllll15HIP_vector_typeIjLj3EES9_S9_S9_S9_,"axG",@progbits,_ZL10k_set_rowsIfifEvPKT_PKT0_PT1_llllllllllllll15HIP_vector_typeIjLj3EES9_S9_S9_S9_,comdat
	.globl	_ZL10k_set_rowsIfifEvPKT_PKT0_PT1_llllllllllllll15HIP_vector_typeIjLj3EES9_S9_S9_S9_ ; -- Begin function _ZL10k_set_rowsIfifEvPKT_PKT0_PT1_llllllllllllll15HIP_vector_typeIjLj3EES9_S9_S9_S9_
	.p2align	8
	.type	_ZL10k_set_rowsIfifEvPKT_PKT0_PT1_llllllllllllll15HIP_vector_typeIjLj3EES9_S9_S9_S9_,@function
_ZL10k_set_rowsIfifEvPKT_PKT0_PT1_llllllllllllll15HIP_vector_typeIjLj3EES9_S9_S9_S9_: ; @_ZL10k_set_rowsIfifEvPKT_PKT0_PT1_llllllllllllll15HIP_vector_typeIjLj3EES9_S9_S9_S9_
; %bb.0:
	s_load_dword s0, s[4:5], 0xd4
	v_mov_b32_e32 v1, 0
	s_load_dwordx8 s[24:31], s[4:5], 0x0
	v_mov_b32_e32 v2, s6
	s_waitcnt lgkmcnt(0)
	s_and_b32 s0, s0, 0xffff
	v_mad_u64_u32 v[2:3], s[0:1], s0, v2, v[0:1]
	v_cmp_gt_i64_e32 vcc, s[30:31], v[2:3]
	s_and_saveexec_b64 s[0:1], vcc
	s_cbranch_execz .LBB9_2
; %bb.1:
	s_load_dwordx8 s[36:43], s[4:5], 0x88
	s_load_dword s33, s[4:5], 0xc0
	s_load_dwordx2 s[6:7], s[4:5], 0xb8
	s_load_dwordx4 s[0:3], s[4:5], 0xa8
	s_load_dwordx16 s[8:23], s[4:5], 0x40
	v_mov_b32_e32 v10, s27
	s_waitcnt lgkmcnt(0)
	v_mul_hi_u32 v0, v2, s36
	v_add_u32_e32 v0, v0, v2
	v_lshrrev_b32_e32 v0, s37, v0
	v_mul_hi_u32 v3, v0, s39
	v_mul_lo_u32 v6, v0, s38
	v_add_u32_e32 v3, v0, v3
	v_lshrrev_b32_e32 v5, s40, v3
	v_mul_lo_u32 v3, v5, s41
	v_mul_hi_u32 v4, v5, s42
	v_sub_u32_e32 v11, v0, v3
	v_add_u32_e32 v0, v5, v4
	v_lshrrev_b32_e32 v12, s43, v0
	v_mul_lo_u32 v7, v12, s0
	v_mad_u64_u32 v[3:4], s[30:31], s14, v11, 0
	v_mul_hi_u32 v8, v12, s6
	v_sub_u32_e32 v13, v5, v7
	v_mul_hi_u32 v7, v13, s1
	v_sub_u32_e32 v0, v2, v6
	v_mov_b32_e32 v2, v4
	v_mad_u64_u32 v[4:5], s[0:1], s15, v11, v[2:3]
	v_add_u32_e32 v6, v12, v8
	v_add_u32_e32 v5, v13, v7
	v_lshrrev_b32_e32 v2, s7, v6
	v_lshrrev_b32_e32 v5, s2, v5
	v_mul_lo_u32 v5, v5, s3
	v_mul_lo_u32 v6, v2, s33
	v_lshlrev_b64 v[2:3], 2, v[3:4]
	v_lshlrev_b64 v[0:1], 2, v[0:1]
	v_sub_u32_e32 v8, v13, v5
	v_sub_u32_e32 v14, v12, v6
	v_mad_u64_u32 v[4:5], s[0:1], s16, v8, 0
	v_mad_u64_u32 v[6:7], s[0:1], s18, v14, 0
	;; [unrolled: 1-line block ×3, first 2 shown]
	v_add_co_u32_e32 v9, vcc, s26, v2
	v_mov_b32_e32 v5, v8
	v_addc_co_u32_e32 v10, vcc, v10, v3, vcc
	v_lshlrev_b64 v[2:3], 2, v[4:5]
	v_mov_b32_e32 v4, v7
	v_mad_u64_u32 v[4:5], s[0:1], s19, v14, v[4:5]
	v_add_co_u32_e32 v8, vcc, v9, v2
	v_mov_b32_e32 v7, v4
	v_mad_u64_u32 v[4:5], s[0:1], s8, v11, 0
	v_addc_co_u32_e32 v9, vcc, v10, v3, vcc
	v_lshlrev_b64 v[2:3], 2, v[6:7]
	v_mad_u64_u32 v[5:6], s[0:1], s9, v11, v[5:6]
	v_add_co_u32_e32 v2, vcc, v8, v2
	v_addc_co_u32_e32 v3, vcc, v9, v3, vcc
	global_load_dword v9, v[2:3], off
	v_mad_u64_u32 v[2:3], s[0:1], s10, v13, 0
	v_lshlrev_b64 v[4:5], 2, v[4:5]
	v_mov_b32_e32 v10, s25
	v_mad_u64_u32 v[6:7], s[0:1], s11, v13, v[3:4]
	v_mad_u64_u32 v[7:8], s[0:1], s12, v12, 0
	v_add_co_u32_e32 v11, vcc, s24, v4
	v_mov_b32_e32 v4, v8
	v_addc_co_u32_e32 v10, vcc, v10, v5, vcc
	v_mad_u64_u32 v[4:5], s[0:1], s13, v12, v[4:5]
	v_mov_b32_e32 v3, v6
	v_lshlrev_b64 v[2:3], 2, v[2:3]
	v_mov_b32_e32 v8, v4
	v_add_co_u32_e32 v5, vcc, v11, v2
	v_addc_co_u32_e32 v6, vcc, v10, v3, vcc
	v_lshlrev_b64 v[2:3], 2, v[7:8]
	s_load_dwordx2 s[0:1], s[4:5], 0x80
	v_add_co_u32_e32 v2, vcc, v5, v2
	v_addc_co_u32_e32 v3, vcc, v6, v3, vcc
	v_add_co_u32_e32 v2, vcc, v2, v0
	v_addc_co_u32_e32 v3, vcc, v3, v1, vcc
	global_load_dword v8, v[2:3], off
	s_waitcnt lgkmcnt(0)
	v_mad_u64_u32 v[2:3], s[2:3], s0, v12, 0
	v_mad_u64_u32 v[4:5], s[2:3], s22, v13, 0
	v_mov_b32_e32 v10, s29
	v_mad_u64_u32 v[6:7], s[0:1], s1, v12, v[3:4]
	v_mov_b32_e32 v3, v6
	v_mad_u64_u32 v[5:6], s[0:1], s23, v13, v[5:6]
	v_lshlrev_b64 v[2:3], 2, v[2:3]
	v_lshlrev_b64 v[4:5], 2, v[4:5]
	s_waitcnt vmcnt(1)
	v_ashrrev_i32_e32 v11, 31, v9
	v_mul_lo_u32 v12, s21, v9
	v_mad_u64_u32 v[6:7], s[0:1], s20, v9, 0
	v_mul_lo_u32 v9, s20, v11
	v_add3_u32 v7, v7, v9, v12
	v_lshlrev_b64 v[6:7], 2, v[6:7]
	v_add_co_u32_e32 v6, vcc, s28, v6
	v_addc_co_u32_e32 v7, vcc, v10, v7, vcc
	v_add_co_u32_e32 v4, vcc, v6, v4
	v_addc_co_u32_e32 v5, vcc, v7, v5, vcc
	v_add_co_u32_e32 v2, vcc, v4, v2
	v_addc_co_u32_e32 v3, vcc, v5, v3, vcc
	v_add_co_u32_e32 v0, vcc, v2, v0
	v_addc_co_u32_e32 v1, vcc, v3, v1, vcc
	s_waitcnt vmcnt(0)
	global_store_dword v[0:1], v8, off
.LBB9_2:
	s_endpgm
	.section	.rodata,"a",@progbits
	.p2align	6, 0x0
	.amdhsa_kernel _ZL10k_set_rowsIfifEvPKT_PKT0_PT1_llllllllllllll15HIP_vector_typeIjLj3EES9_S9_S9_S9_
		.amdhsa_group_segment_fixed_size 0
		.amdhsa_private_segment_fixed_size 0
		.amdhsa_kernarg_size 456
		.amdhsa_user_sgpr_count 6
		.amdhsa_user_sgpr_private_segment_buffer 1
		.amdhsa_user_sgpr_dispatch_ptr 0
		.amdhsa_user_sgpr_queue_ptr 0
		.amdhsa_user_sgpr_kernarg_segment_ptr 1
		.amdhsa_user_sgpr_dispatch_id 0
		.amdhsa_user_sgpr_flat_scratch_init 0
		.amdhsa_user_sgpr_private_segment_size 0
		.amdhsa_uses_dynamic_stack 0
		.amdhsa_system_sgpr_private_segment_wavefront_offset 0
		.amdhsa_system_sgpr_workgroup_id_x 1
		.amdhsa_system_sgpr_workgroup_id_y 0
		.amdhsa_system_sgpr_workgroup_id_z 0
		.amdhsa_system_sgpr_workgroup_info 0
		.amdhsa_system_vgpr_workitem_id 0
		.amdhsa_next_free_vgpr 15
		.amdhsa_next_free_sgpr 44
		.amdhsa_reserve_vcc 1
		.amdhsa_reserve_flat_scratch 0
		.amdhsa_float_round_mode_32 0
		.amdhsa_float_round_mode_16_64 0
		.amdhsa_float_denorm_mode_32 3
		.amdhsa_float_denorm_mode_16_64 3
		.amdhsa_dx10_clamp 1
		.amdhsa_ieee_mode 1
		.amdhsa_fp16_overflow 0
		.amdhsa_exception_fp_ieee_invalid_op 0
		.amdhsa_exception_fp_denorm_src 0
		.amdhsa_exception_fp_ieee_div_zero 0
		.amdhsa_exception_fp_ieee_overflow 0
		.amdhsa_exception_fp_ieee_underflow 0
		.amdhsa_exception_fp_ieee_inexact 0
		.amdhsa_exception_int_div_zero 0
	.end_amdhsa_kernel
	.section	.text._ZL10k_set_rowsIfifEvPKT_PKT0_PT1_llllllllllllll15HIP_vector_typeIjLj3EES9_S9_S9_S9_,"axG",@progbits,_ZL10k_set_rowsIfifEvPKT_PKT0_PT1_llllllllllllll15HIP_vector_typeIjLj3EES9_S9_S9_S9_,comdat
.Lfunc_end9:
	.size	_ZL10k_set_rowsIfifEvPKT_PKT0_PT1_llllllllllllll15HIP_vector_typeIjLj3EES9_S9_S9_S9_, .Lfunc_end9-_ZL10k_set_rowsIfifEvPKT_PKT0_PT1_llllllllllllll15HIP_vector_typeIjLj3EES9_S9_S9_S9_
                                        ; -- End function
	.set _ZL10k_set_rowsIfifEvPKT_PKT0_PT1_llllllllllllll15HIP_vector_typeIjLj3EES9_S9_S9_S9_.num_vgpr, 15
	.set _ZL10k_set_rowsIfifEvPKT_PKT0_PT1_llllllllllllll15HIP_vector_typeIjLj3EES9_S9_S9_S9_.num_agpr, 0
	.set _ZL10k_set_rowsIfifEvPKT_PKT0_PT1_llllllllllllll15HIP_vector_typeIjLj3EES9_S9_S9_S9_.numbered_sgpr, 44
	.set _ZL10k_set_rowsIfifEvPKT_PKT0_PT1_llllllllllllll15HIP_vector_typeIjLj3EES9_S9_S9_S9_.num_named_barrier, 0
	.set _ZL10k_set_rowsIfifEvPKT_PKT0_PT1_llllllllllllll15HIP_vector_typeIjLj3EES9_S9_S9_S9_.private_seg_size, 0
	.set _ZL10k_set_rowsIfifEvPKT_PKT0_PT1_llllllllllllll15HIP_vector_typeIjLj3EES9_S9_S9_S9_.uses_vcc, 1
	.set _ZL10k_set_rowsIfifEvPKT_PKT0_PT1_llllllllllllll15HIP_vector_typeIjLj3EES9_S9_S9_S9_.uses_flat_scratch, 0
	.set _ZL10k_set_rowsIfifEvPKT_PKT0_PT1_llllllllllllll15HIP_vector_typeIjLj3EES9_S9_S9_S9_.has_dyn_sized_stack, 0
	.set _ZL10k_set_rowsIfifEvPKT_PKT0_PT1_llllllllllllll15HIP_vector_typeIjLj3EES9_S9_S9_S9_.has_recursion, 0
	.set _ZL10k_set_rowsIfifEvPKT_PKT0_PT1_llllllllllllll15HIP_vector_typeIjLj3EES9_S9_S9_S9_.has_indirect_call, 0
	.section	.AMDGPU.csdata,"",@progbits
; Kernel info:
; codeLenInByte = 664
; TotalNumSgprs: 48
; NumVgprs: 15
; ScratchSize: 0
; MemoryBound: 0
; FloatMode: 240
; IeeeMode: 1
; LDSByteSize: 0 bytes/workgroup (compile time only)
; SGPRBlocks: 5
; VGPRBlocks: 3
; NumSGPRsForWavesPerEU: 48
; NumVGPRsForWavesPerEU: 15
; Occupancy: 10
; WaveLimiterHint : 1
; COMPUTE_PGM_RSRC2:SCRATCH_EN: 0
; COMPUTE_PGM_RSRC2:USER_SGPR: 6
; COMPUTE_PGM_RSRC2:TRAP_HANDLER: 0
; COMPUTE_PGM_RSRC2:TGID_X_EN: 1
; COMPUTE_PGM_RSRC2:TGID_Y_EN: 0
; COMPUTE_PGM_RSRC2:TGID_Z_EN: 0
; COMPUTE_PGM_RSRC2:TIDIG_COMP_CNT: 0
	.section	.text._ZL10k_set_rowsIfi6__halfEvPKT_PKT0_PT1_llllllllllllll15HIP_vector_typeIjLj3EESA_SA_SA_SA_,"axG",@progbits,_ZL10k_set_rowsIfi6__halfEvPKT_PKT0_PT1_llllllllllllll15HIP_vector_typeIjLj3EESA_SA_SA_SA_,comdat
	.globl	_ZL10k_set_rowsIfi6__halfEvPKT_PKT0_PT1_llllllllllllll15HIP_vector_typeIjLj3EESA_SA_SA_SA_ ; -- Begin function _ZL10k_set_rowsIfi6__halfEvPKT_PKT0_PT1_llllllllllllll15HIP_vector_typeIjLj3EESA_SA_SA_SA_
	.p2align	8
	.type	_ZL10k_set_rowsIfi6__halfEvPKT_PKT0_PT1_llllllllllllll15HIP_vector_typeIjLj3EESA_SA_SA_SA_,@function
_ZL10k_set_rowsIfi6__halfEvPKT_PKT0_PT1_llllllllllllll15HIP_vector_typeIjLj3EESA_SA_SA_SA_: ; @_ZL10k_set_rowsIfi6__halfEvPKT_PKT0_PT1_llllllllllllll15HIP_vector_typeIjLj3EESA_SA_SA_SA_
; %bb.0:
	s_load_dword s0, s[4:5], 0xd4
	v_mov_b32_e32 v1, 0
	s_load_dwordx8 s[24:31], s[4:5], 0x0
	v_mov_b32_e32 v2, s6
	s_waitcnt lgkmcnt(0)
	s_and_b32 s0, s0, 0xffff
	v_mad_u64_u32 v[2:3], s[0:1], s0, v2, v[0:1]
	v_cmp_gt_i64_e32 vcc, s[30:31], v[2:3]
	s_and_saveexec_b64 s[0:1], vcc
	s_cbranch_execz .LBB10_2
; %bb.1:
	s_load_dwordx8 s[36:43], s[4:5], 0x88
	s_load_dword s33, s[4:5], 0xc0
	s_load_dwordx2 s[6:7], s[4:5], 0xb8
	s_load_dwordx4 s[0:3], s[4:5], 0xa8
	s_load_dwordx16 s[8:23], s[4:5], 0x40
	v_mov_b32_e32 v10, s27
	s_waitcnt lgkmcnt(0)
	v_mul_hi_u32 v0, v2, s36
	v_add_u32_e32 v0, v0, v2
	v_lshrrev_b32_e32 v0, s37, v0
	v_mul_hi_u32 v3, v0, s39
	v_mul_lo_u32 v6, v0, s38
	v_add_u32_e32 v3, v0, v3
	v_lshrrev_b32_e32 v5, s40, v3
	v_mul_lo_u32 v3, v5, s41
	v_mul_hi_u32 v4, v5, s42
	v_sub_u32_e32 v11, v0, v3
	v_add_u32_e32 v0, v5, v4
	v_lshrrev_b32_e32 v12, s43, v0
	v_mul_lo_u32 v7, v12, s0
	v_mad_u64_u32 v[3:4], s[30:31], s14, v11, 0
	v_mul_hi_u32 v8, v12, s6
	v_sub_u32_e32 v13, v5, v7
	v_mul_hi_u32 v7, v13, s1
	v_sub_u32_e32 v0, v2, v6
	v_mov_b32_e32 v2, v4
	v_mad_u64_u32 v[4:5], s[0:1], s15, v11, v[2:3]
	v_add_u32_e32 v6, v12, v8
	v_add_u32_e32 v5, v13, v7
	v_lshrrev_b32_e32 v2, s7, v6
	v_lshrrev_b32_e32 v5, s2, v5
	v_mul_lo_u32 v5, v5, s3
	v_mul_lo_u32 v6, v2, s33
	v_lshlrev_b64 v[2:3], 2, v[3:4]
	v_sub_u32_e32 v8, v13, v5
	v_sub_u32_e32 v14, v12, v6
	v_mad_u64_u32 v[4:5], s[0:1], s16, v8, 0
	v_mad_u64_u32 v[6:7], s[0:1], s18, v14, 0
	;; [unrolled: 1-line block ×3, first 2 shown]
	v_add_co_u32_e32 v9, vcc, s26, v2
	v_mov_b32_e32 v5, v8
	v_addc_co_u32_e32 v10, vcc, v10, v3, vcc
	v_lshlrev_b64 v[2:3], 2, v[4:5]
	v_mov_b32_e32 v4, v7
	v_mad_u64_u32 v[4:5], s[0:1], s19, v14, v[4:5]
	v_add_co_u32_e32 v8, vcc, v9, v2
	v_mov_b32_e32 v7, v4
	v_mad_u64_u32 v[4:5], s[0:1], s8, v11, 0
	v_addc_co_u32_e32 v9, vcc, v10, v3, vcc
	v_lshlrev_b64 v[2:3], 2, v[6:7]
	v_mad_u64_u32 v[5:6], s[0:1], s9, v11, v[5:6]
	v_add_co_u32_e32 v2, vcc, v8, v2
	v_addc_co_u32_e32 v3, vcc, v9, v3, vcc
	global_load_dword v9, v[2:3], off
	v_mad_u64_u32 v[2:3], s[0:1], s10, v13, 0
	v_lshlrev_b64 v[4:5], 2, v[4:5]
	v_mov_b32_e32 v10, s25
	v_mad_u64_u32 v[6:7], s[0:1], s11, v13, v[3:4]
	v_mad_u64_u32 v[7:8], s[0:1], s12, v12, 0
	v_add_co_u32_e32 v11, vcc, s24, v4
	v_mov_b32_e32 v4, v8
	v_addc_co_u32_e32 v10, vcc, v10, v5, vcc
	v_mad_u64_u32 v[4:5], s[0:1], s13, v12, v[4:5]
	v_mov_b32_e32 v3, v6
	v_lshlrev_b64 v[2:3], 2, v[2:3]
	v_mov_b32_e32 v8, v4
	v_add_co_u32_e32 v5, vcc, v11, v2
	v_addc_co_u32_e32 v6, vcc, v10, v3, vcc
	v_lshlrev_b64 v[2:3], 2, v[7:8]
	s_load_dwordx2 s[0:1], s[4:5], 0x80
	v_add_co_u32_e32 v4, vcc, v5, v2
	v_addc_co_u32_e32 v5, vcc, v6, v3, vcc
	v_lshlrev_b64 v[2:3], 2, v[0:1]
	v_mov_b32_e32 v10, s29
	v_add_co_u32_e32 v2, vcc, v4, v2
	v_addc_co_u32_e32 v3, vcc, v5, v3, vcc
	global_load_dword v8, v[2:3], off
	s_waitcnt lgkmcnt(0)
	v_mad_u64_u32 v[2:3], s[2:3], s0, v12, 0
	v_mad_u64_u32 v[4:5], s[2:3], s22, v13, 0
	v_lshlrev_b64 v[0:1], 1, v[0:1]
	v_mad_u64_u32 v[6:7], s[0:1], s1, v12, v[3:4]
	v_mov_b32_e32 v3, v6
	v_mad_u64_u32 v[5:6], s[0:1], s23, v13, v[5:6]
	v_lshlrev_b64 v[2:3], 1, v[2:3]
	v_lshlrev_b64 v[4:5], 1, v[4:5]
	s_waitcnt vmcnt(1)
	v_ashrrev_i32_e32 v11, 31, v9
	v_mul_lo_u32 v12, s21, v9
	v_mad_u64_u32 v[6:7], s[0:1], s20, v9, 0
	v_mul_lo_u32 v9, s20, v11
	v_add3_u32 v7, v7, v9, v12
	v_lshlrev_b64 v[6:7], 1, v[6:7]
	v_add_co_u32_e32 v6, vcc, s28, v6
	v_addc_co_u32_e32 v7, vcc, v10, v7, vcc
	v_add_co_u32_e32 v4, vcc, v6, v4
	v_addc_co_u32_e32 v5, vcc, v7, v5, vcc
	;; [unrolled: 2-line block ×4, first 2 shown]
	s_waitcnt vmcnt(0)
	v_cvt_f16_f32_e32 v8, v8
	global_store_short v[0:1], v8, off
.LBB10_2:
	s_endpgm
	.section	.rodata,"a",@progbits
	.p2align	6, 0x0
	.amdhsa_kernel _ZL10k_set_rowsIfi6__halfEvPKT_PKT0_PT1_llllllllllllll15HIP_vector_typeIjLj3EESA_SA_SA_SA_
		.amdhsa_group_segment_fixed_size 0
		.amdhsa_private_segment_fixed_size 0
		.amdhsa_kernarg_size 456
		.amdhsa_user_sgpr_count 6
		.amdhsa_user_sgpr_private_segment_buffer 1
		.amdhsa_user_sgpr_dispatch_ptr 0
		.amdhsa_user_sgpr_queue_ptr 0
		.amdhsa_user_sgpr_kernarg_segment_ptr 1
		.amdhsa_user_sgpr_dispatch_id 0
		.amdhsa_user_sgpr_flat_scratch_init 0
		.amdhsa_user_sgpr_private_segment_size 0
		.amdhsa_uses_dynamic_stack 0
		.amdhsa_system_sgpr_private_segment_wavefront_offset 0
		.amdhsa_system_sgpr_workgroup_id_x 1
		.amdhsa_system_sgpr_workgroup_id_y 0
		.amdhsa_system_sgpr_workgroup_id_z 0
		.amdhsa_system_sgpr_workgroup_info 0
		.amdhsa_system_vgpr_workitem_id 0
		.amdhsa_next_free_vgpr 15
		.amdhsa_next_free_sgpr 44
		.amdhsa_reserve_vcc 1
		.amdhsa_reserve_flat_scratch 0
		.amdhsa_float_round_mode_32 0
		.amdhsa_float_round_mode_16_64 0
		.amdhsa_float_denorm_mode_32 3
		.amdhsa_float_denorm_mode_16_64 3
		.amdhsa_dx10_clamp 1
		.amdhsa_ieee_mode 1
		.amdhsa_fp16_overflow 0
		.amdhsa_exception_fp_ieee_invalid_op 0
		.amdhsa_exception_fp_denorm_src 0
		.amdhsa_exception_fp_ieee_div_zero 0
		.amdhsa_exception_fp_ieee_overflow 0
		.amdhsa_exception_fp_ieee_underflow 0
		.amdhsa_exception_fp_ieee_inexact 0
		.amdhsa_exception_int_div_zero 0
	.end_amdhsa_kernel
	.section	.text._ZL10k_set_rowsIfi6__halfEvPKT_PKT0_PT1_llllllllllllll15HIP_vector_typeIjLj3EESA_SA_SA_SA_,"axG",@progbits,_ZL10k_set_rowsIfi6__halfEvPKT_PKT0_PT1_llllllllllllll15HIP_vector_typeIjLj3EESA_SA_SA_SA_,comdat
.Lfunc_end10:
	.size	_ZL10k_set_rowsIfi6__halfEvPKT_PKT0_PT1_llllllllllllll15HIP_vector_typeIjLj3EESA_SA_SA_SA_, .Lfunc_end10-_ZL10k_set_rowsIfi6__halfEvPKT_PKT0_PT1_llllllllllllll15HIP_vector_typeIjLj3EESA_SA_SA_SA_
                                        ; -- End function
	.set _ZL10k_set_rowsIfi6__halfEvPKT_PKT0_PT1_llllllllllllll15HIP_vector_typeIjLj3EESA_SA_SA_SA_.num_vgpr, 15
	.set _ZL10k_set_rowsIfi6__halfEvPKT_PKT0_PT1_llllllllllllll15HIP_vector_typeIjLj3EESA_SA_SA_SA_.num_agpr, 0
	.set _ZL10k_set_rowsIfi6__halfEvPKT_PKT0_PT1_llllllllllllll15HIP_vector_typeIjLj3EESA_SA_SA_SA_.numbered_sgpr, 44
	.set _ZL10k_set_rowsIfi6__halfEvPKT_PKT0_PT1_llllllllllllll15HIP_vector_typeIjLj3EESA_SA_SA_SA_.num_named_barrier, 0
	.set _ZL10k_set_rowsIfi6__halfEvPKT_PKT0_PT1_llllllllllllll15HIP_vector_typeIjLj3EESA_SA_SA_SA_.private_seg_size, 0
	.set _ZL10k_set_rowsIfi6__halfEvPKT_PKT0_PT1_llllllllllllll15HIP_vector_typeIjLj3EESA_SA_SA_SA_.uses_vcc, 1
	.set _ZL10k_set_rowsIfi6__halfEvPKT_PKT0_PT1_llllllllllllll15HIP_vector_typeIjLj3EESA_SA_SA_SA_.uses_flat_scratch, 0
	.set _ZL10k_set_rowsIfi6__halfEvPKT_PKT0_PT1_llllllllllllll15HIP_vector_typeIjLj3EESA_SA_SA_SA_.has_dyn_sized_stack, 0
	.set _ZL10k_set_rowsIfi6__halfEvPKT_PKT0_PT1_llllllllllllll15HIP_vector_typeIjLj3EESA_SA_SA_SA_.has_recursion, 0
	.set _ZL10k_set_rowsIfi6__halfEvPKT_PKT0_PT1_llllllllllllll15HIP_vector_typeIjLj3EESA_SA_SA_SA_.has_indirect_call, 0
	.section	.AMDGPU.csdata,"",@progbits
; Kernel info:
; codeLenInByte = 676
; TotalNumSgprs: 48
; NumVgprs: 15
; ScratchSize: 0
; MemoryBound: 0
; FloatMode: 240
; IeeeMode: 1
; LDSByteSize: 0 bytes/workgroup (compile time only)
; SGPRBlocks: 5
; VGPRBlocks: 3
; NumSGPRsForWavesPerEU: 48
; NumVGPRsForWavesPerEU: 15
; Occupancy: 10
; WaveLimiterHint : 1
; COMPUTE_PGM_RSRC2:SCRATCH_EN: 0
; COMPUTE_PGM_RSRC2:USER_SGPR: 6
; COMPUTE_PGM_RSRC2:TRAP_HANDLER: 0
; COMPUTE_PGM_RSRC2:TGID_X_EN: 1
; COMPUTE_PGM_RSRC2:TGID_Y_EN: 0
; COMPUTE_PGM_RSRC2:TGID_Z_EN: 0
; COMPUTE_PGM_RSRC2:TIDIG_COMP_CNT: 0
	.section	.text._ZL10k_set_rowsIfi14__hip_bfloat16EvPKT_PKT0_PT1_llllllllllllll15HIP_vector_typeIjLj3EESA_SA_SA_SA_,"axG",@progbits,_ZL10k_set_rowsIfi14__hip_bfloat16EvPKT_PKT0_PT1_llllllllllllll15HIP_vector_typeIjLj3EESA_SA_SA_SA_,comdat
	.globl	_ZL10k_set_rowsIfi14__hip_bfloat16EvPKT_PKT0_PT1_llllllllllllll15HIP_vector_typeIjLj3EESA_SA_SA_SA_ ; -- Begin function _ZL10k_set_rowsIfi14__hip_bfloat16EvPKT_PKT0_PT1_llllllllllllll15HIP_vector_typeIjLj3EESA_SA_SA_SA_
	.p2align	8
	.type	_ZL10k_set_rowsIfi14__hip_bfloat16EvPKT_PKT0_PT1_llllllllllllll15HIP_vector_typeIjLj3EESA_SA_SA_SA_,@function
_ZL10k_set_rowsIfi14__hip_bfloat16EvPKT_PKT0_PT1_llllllllllllll15HIP_vector_typeIjLj3EESA_SA_SA_SA_: ; @_ZL10k_set_rowsIfi14__hip_bfloat16EvPKT_PKT0_PT1_llllllllllllll15HIP_vector_typeIjLj3EESA_SA_SA_SA_
; %bb.0:
	s_load_dword s0, s[4:5], 0xd4
	v_mov_b32_e32 v1, 0
	s_load_dwordx8 s[24:31], s[4:5], 0x0
	v_mov_b32_e32 v2, s6
	s_waitcnt lgkmcnt(0)
	s_and_b32 s0, s0, 0xffff
	v_mad_u64_u32 v[2:3], s[0:1], s0, v2, v[0:1]
	v_cmp_gt_i64_e32 vcc, s[30:31], v[2:3]
	s_and_saveexec_b64 s[0:1], vcc
	s_cbranch_execz .LBB11_2
; %bb.1:
	s_load_dwordx8 s[36:43], s[4:5], 0x88
	s_load_dword s33, s[4:5], 0xc0
	s_load_dwordx2 s[6:7], s[4:5], 0xb8
	s_load_dwordx4 s[0:3], s[4:5], 0xa8
	s_load_dwordx16 s[8:23], s[4:5], 0x40
	v_mov_b32_e32 v10, s27
	s_waitcnt lgkmcnt(0)
	v_mul_hi_u32 v0, v2, s36
	v_add_u32_e32 v0, v0, v2
	v_lshrrev_b32_e32 v0, s37, v0
	v_mul_hi_u32 v3, v0, s39
	v_mul_lo_u32 v6, v0, s38
	v_add_u32_e32 v3, v0, v3
	v_lshrrev_b32_e32 v5, s40, v3
	v_mul_lo_u32 v3, v5, s41
	v_mul_hi_u32 v4, v5, s42
	v_sub_u32_e32 v11, v0, v3
	v_add_u32_e32 v0, v5, v4
	v_lshrrev_b32_e32 v12, s43, v0
	v_mul_lo_u32 v7, v12, s0
	v_mad_u64_u32 v[3:4], s[30:31], s14, v11, 0
	v_mul_hi_u32 v8, v12, s6
	v_sub_u32_e32 v13, v5, v7
	v_mul_hi_u32 v7, v13, s1
	v_sub_u32_e32 v0, v2, v6
	v_mov_b32_e32 v2, v4
	v_mad_u64_u32 v[4:5], s[0:1], s15, v11, v[2:3]
	v_add_u32_e32 v6, v12, v8
	v_add_u32_e32 v5, v13, v7
	v_lshrrev_b32_e32 v2, s7, v6
	v_lshrrev_b32_e32 v5, s2, v5
	v_mul_lo_u32 v5, v5, s3
	v_mul_lo_u32 v6, v2, s33
	v_lshlrev_b64 v[2:3], 2, v[3:4]
	v_sub_u32_e32 v8, v13, v5
	v_sub_u32_e32 v14, v12, v6
	v_mad_u64_u32 v[4:5], s[0:1], s16, v8, 0
	v_mad_u64_u32 v[6:7], s[0:1], s18, v14, 0
	;; [unrolled: 1-line block ×3, first 2 shown]
	v_add_co_u32_e32 v9, vcc, s26, v2
	v_mov_b32_e32 v5, v8
	v_addc_co_u32_e32 v10, vcc, v10, v3, vcc
	v_lshlrev_b64 v[2:3], 2, v[4:5]
	v_mov_b32_e32 v4, v7
	v_mad_u64_u32 v[4:5], s[0:1], s19, v14, v[4:5]
	v_add_co_u32_e32 v8, vcc, v9, v2
	v_mov_b32_e32 v7, v4
	v_mad_u64_u32 v[4:5], s[0:1], s8, v11, 0
	v_addc_co_u32_e32 v9, vcc, v10, v3, vcc
	v_lshlrev_b64 v[2:3], 2, v[6:7]
	v_mad_u64_u32 v[5:6], s[0:1], s9, v11, v[5:6]
	v_add_co_u32_e32 v2, vcc, v8, v2
	v_addc_co_u32_e32 v3, vcc, v9, v3, vcc
	global_load_dword v9, v[2:3], off
	v_mad_u64_u32 v[2:3], s[0:1], s10, v13, 0
	v_lshlrev_b64 v[4:5], 2, v[4:5]
	v_mov_b32_e32 v10, s25
	v_mad_u64_u32 v[6:7], s[0:1], s11, v13, v[3:4]
	v_mad_u64_u32 v[7:8], s[0:1], s12, v12, 0
	v_add_co_u32_e32 v11, vcc, s24, v4
	v_mov_b32_e32 v4, v8
	v_addc_co_u32_e32 v10, vcc, v10, v5, vcc
	v_mad_u64_u32 v[4:5], s[0:1], s13, v12, v[4:5]
	v_mov_b32_e32 v3, v6
	v_lshlrev_b64 v[2:3], 2, v[2:3]
	v_mov_b32_e32 v8, v4
	v_add_co_u32_e32 v5, vcc, v11, v2
	v_addc_co_u32_e32 v6, vcc, v10, v3, vcc
	v_lshlrev_b64 v[2:3], 2, v[7:8]
	s_load_dwordx2 s[0:1], s[4:5], 0x80
	v_add_co_u32_e32 v4, vcc, v5, v2
	v_addc_co_u32_e32 v5, vcc, v6, v3, vcc
	v_lshlrev_b64 v[2:3], 2, v[0:1]
	v_mov_b32_e32 v11, s29
	v_add_co_u32_e32 v2, vcc, v4, v2
	v_addc_co_u32_e32 v3, vcc, v5, v3, vcc
	global_load_dword v10, v[2:3], off
	s_waitcnt lgkmcnt(0)
	v_mad_u64_u32 v[2:3], s[2:3], s0, v12, 0
	v_mad_u64_u32 v[4:5], s[2:3], s22, v13, 0
	s_movk_i32 s2, 0x7fff
	v_lshlrev_b64 v[0:1], 1, v[0:1]
	v_mad_u64_u32 v[6:7], s[0:1], s1, v12, v[3:4]
	v_mov_b32_e32 v3, v5
	v_mad_u64_u32 v[7:8], s[0:1], s23, v13, v[3:4]
	v_mov_b32_e32 v3, v6
	v_lshlrev_b64 v[2:3], 1, v[2:3]
	v_mov_b32_e32 v5, v7
	v_lshlrev_b64 v[4:5], 1, v[4:5]
	s_waitcnt vmcnt(1)
	v_ashrrev_i32_e32 v8, 31, v9
	v_mul_lo_u32 v12, s21, v9
	v_mad_u64_u32 v[6:7], s[0:1], s20, v9, 0
	v_mul_lo_u32 v8, s20, v8
	v_add3_u32 v7, v7, v8, v12
	v_lshlrev_b64 v[6:7], 1, v[6:7]
	v_add_co_u32_e32 v6, vcc, s28, v6
	v_addc_co_u32_e32 v7, vcc, v11, v7, vcc
	v_add_co_u32_e32 v4, vcc, v6, v4
	v_addc_co_u32_e32 v5, vcc, v7, v5, vcc
	;; [unrolled: 2-line block ×3, first 2 shown]
	s_waitcnt vmcnt(0)
	v_bfe_u32 v9, v10, 16, 1
	v_or_b32_e32 v13, 0x400000, v10
	v_add3_u32 v9, v9, v10, s2
	v_cmp_u_f32_e32 vcc, v10, v10
	v_cndmask_b32_e32 v4, v9, v13, vcc
	v_add_co_u32_e32 v0, vcc, v2, v0
	v_addc_co_u32_e32 v1, vcc, v3, v1, vcc
	global_store_short_d16_hi v[0:1], v4, off
.LBB11_2:
	s_endpgm
	.section	.rodata,"a",@progbits
	.p2align	6, 0x0
	.amdhsa_kernel _ZL10k_set_rowsIfi14__hip_bfloat16EvPKT_PKT0_PT1_llllllllllllll15HIP_vector_typeIjLj3EESA_SA_SA_SA_
		.amdhsa_group_segment_fixed_size 0
		.amdhsa_private_segment_fixed_size 0
		.amdhsa_kernarg_size 456
		.amdhsa_user_sgpr_count 6
		.amdhsa_user_sgpr_private_segment_buffer 1
		.amdhsa_user_sgpr_dispatch_ptr 0
		.amdhsa_user_sgpr_queue_ptr 0
		.amdhsa_user_sgpr_kernarg_segment_ptr 1
		.amdhsa_user_sgpr_dispatch_id 0
		.amdhsa_user_sgpr_flat_scratch_init 0
		.amdhsa_user_sgpr_private_segment_size 0
		.amdhsa_uses_dynamic_stack 0
		.amdhsa_system_sgpr_private_segment_wavefront_offset 0
		.amdhsa_system_sgpr_workgroup_id_x 1
		.amdhsa_system_sgpr_workgroup_id_y 0
		.amdhsa_system_sgpr_workgroup_id_z 0
		.amdhsa_system_sgpr_workgroup_info 0
		.amdhsa_system_vgpr_workitem_id 0
		.amdhsa_next_free_vgpr 15
		.amdhsa_next_free_sgpr 44
		.amdhsa_reserve_vcc 1
		.amdhsa_reserve_flat_scratch 0
		.amdhsa_float_round_mode_32 0
		.amdhsa_float_round_mode_16_64 0
		.amdhsa_float_denorm_mode_32 3
		.amdhsa_float_denorm_mode_16_64 3
		.amdhsa_dx10_clamp 1
		.amdhsa_ieee_mode 1
		.amdhsa_fp16_overflow 0
		.amdhsa_exception_fp_ieee_invalid_op 0
		.amdhsa_exception_fp_denorm_src 0
		.amdhsa_exception_fp_ieee_div_zero 0
		.amdhsa_exception_fp_ieee_overflow 0
		.amdhsa_exception_fp_ieee_underflow 0
		.amdhsa_exception_fp_ieee_inexact 0
		.amdhsa_exception_int_div_zero 0
	.end_amdhsa_kernel
	.section	.text._ZL10k_set_rowsIfi14__hip_bfloat16EvPKT_PKT0_PT1_llllllllllllll15HIP_vector_typeIjLj3EESA_SA_SA_SA_,"axG",@progbits,_ZL10k_set_rowsIfi14__hip_bfloat16EvPKT_PKT0_PT1_llllllllllllll15HIP_vector_typeIjLj3EESA_SA_SA_SA_,comdat
.Lfunc_end11:
	.size	_ZL10k_set_rowsIfi14__hip_bfloat16EvPKT_PKT0_PT1_llllllllllllll15HIP_vector_typeIjLj3EESA_SA_SA_SA_, .Lfunc_end11-_ZL10k_set_rowsIfi14__hip_bfloat16EvPKT_PKT0_PT1_llllllllllllll15HIP_vector_typeIjLj3EESA_SA_SA_SA_
                                        ; -- End function
	.set _ZL10k_set_rowsIfi14__hip_bfloat16EvPKT_PKT0_PT1_llllllllllllll15HIP_vector_typeIjLj3EESA_SA_SA_SA_.num_vgpr, 15
	.set _ZL10k_set_rowsIfi14__hip_bfloat16EvPKT_PKT0_PT1_llllllllllllll15HIP_vector_typeIjLj3EESA_SA_SA_SA_.num_agpr, 0
	.set _ZL10k_set_rowsIfi14__hip_bfloat16EvPKT_PKT0_PT1_llllllllllllll15HIP_vector_typeIjLj3EESA_SA_SA_SA_.numbered_sgpr, 44
	.set _ZL10k_set_rowsIfi14__hip_bfloat16EvPKT_PKT0_PT1_llllllllllllll15HIP_vector_typeIjLj3EESA_SA_SA_SA_.num_named_barrier, 0
	.set _ZL10k_set_rowsIfi14__hip_bfloat16EvPKT_PKT0_PT1_llllllllllllll15HIP_vector_typeIjLj3EESA_SA_SA_SA_.private_seg_size, 0
	.set _ZL10k_set_rowsIfi14__hip_bfloat16EvPKT_PKT0_PT1_llllllllllllll15HIP_vector_typeIjLj3EESA_SA_SA_SA_.uses_vcc, 1
	.set _ZL10k_set_rowsIfi14__hip_bfloat16EvPKT_PKT0_PT1_llllllllllllll15HIP_vector_typeIjLj3EESA_SA_SA_SA_.uses_flat_scratch, 0
	.set _ZL10k_set_rowsIfi14__hip_bfloat16EvPKT_PKT0_PT1_llllllllllllll15HIP_vector_typeIjLj3EESA_SA_SA_SA_.has_dyn_sized_stack, 0
	.set _ZL10k_set_rowsIfi14__hip_bfloat16EvPKT_PKT0_PT1_llllllllllllll15HIP_vector_typeIjLj3EESA_SA_SA_SA_.has_recursion, 0
	.set _ZL10k_set_rowsIfi14__hip_bfloat16EvPKT_PKT0_PT1_llllllllllllll15HIP_vector_typeIjLj3EESA_SA_SA_SA_.has_indirect_call, 0
	.section	.AMDGPU.csdata,"",@progbits
; Kernel info:
; codeLenInByte = 716
; TotalNumSgprs: 48
; NumVgprs: 15
; ScratchSize: 0
; MemoryBound: 0
; FloatMode: 240
; IeeeMode: 1
; LDSByteSize: 0 bytes/workgroup (compile time only)
; SGPRBlocks: 5
; VGPRBlocks: 3
; NumSGPRsForWavesPerEU: 48
; NumVGPRsForWavesPerEU: 15
; Occupancy: 10
; WaveLimiterHint : 1
; COMPUTE_PGM_RSRC2:SCRATCH_EN: 0
; COMPUTE_PGM_RSRC2:USER_SGPR: 6
; COMPUTE_PGM_RSRC2:TRAP_HANDLER: 0
; COMPUTE_PGM_RSRC2:TGID_X_EN: 1
; COMPUTE_PGM_RSRC2:TGID_Y_EN: 0
; COMPUTE_PGM_RSRC2:TGID_Z_EN: 0
; COMPUTE_PGM_RSRC2:TIDIG_COMP_CNT: 0
	.section	.text._ZL16k_set_rows_quantIi10block_q4_0Li32ETnPFvPKfPT0_EXadL_ZL23quantize_f32_q4_0_blockS2_PS0_EEEvS2_PKT_S4_llllllllllllll15HIP_vector_typeIjLj3EESC_SC_SC_SC_,"axG",@progbits,_ZL16k_set_rows_quantIi10block_q4_0Li32ETnPFvPKfPT0_EXadL_ZL23quantize_f32_q4_0_blockS2_PS0_EEEvS2_PKT_S4_llllllllllllll15HIP_vector_typeIjLj3EESC_SC_SC_SC_,comdat
	.globl	_ZL16k_set_rows_quantIi10block_q4_0Li32ETnPFvPKfPT0_EXadL_ZL23quantize_f32_q4_0_blockS2_PS0_EEEvS2_PKT_S4_llllllllllllll15HIP_vector_typeIjLj3EESC_SC_SC_SC_ ; -- Begin function _ZL16k_set_rows_quantIi10block_q4_0Li32ETnPFvPKfPT0_EXadL_ZL23quantize_f32_q4_0_blockS2_PS0_EEEvS2_PKT_S4_llllllllllllll15HIP_vector_typeIjLj3EESC_SC_SC_SC_
	.p2align	8
	.type	_ZL16k_set_rows_quantIi10block_q4_0Li32ETnPFvPKfPT0_EXadL_ZL23quantize_f32_q4_0_blockS2_PS0_EEEvS2_PKT_S4_llllllllllllll15HIP_vector_typeIjLj3EESC_SC_SC_SC_,@function
_ZL16k_set_rows_quantIi10block_q4_0Li32ETnPFvPKfPT0_EXadL_ZL23quantize_f32_q4_0_blockS2_PS0_EEEvS2_PKT_S4_llllllllllllll15HIP_vector_typeIjLj3EESC_SC_SC_SC_: ; @_ZL16k_set_rows_quantIi10block_q4_0Li32ETnPFvPKfPT0_EXadL_ZL23quantize_f32_q4_0_blockS2_PS0_EEEvS2_PKT_S4_llllllllllllll15HIP_vector_typeIjLj3EESC_SC_SC_SC_
; %bb.0:
	s_load_dword s2, s[4:5], 0xd4
	s_load_dwordx2 s[0:1], s[4:5], 0x18
	v_mov_b32_e32 v1, 0
	v_mov_b32_e32 v2, s6
	s_waitcnt lgkmcnt(0)
	s_and_b32 s2, s2, 0xffff
	v_mad_u64_u32 v[2:3], s[2:3], s2, v2, v[0:1]
	v_cmp_gt_i64_e32 vcc, s[0:1], v[2:3]
	s_and_saveexec_b64 s[0:1], vcc
	s_cbranch_execz .LBB12_2
; %bb.1:
	s_load_dwordx8 s[8:15], s[4:5], 0x88
	v_lshlrev_b32_e32 v0, 5, v2
	s_load_dwordx16 s[56:71], s[4:5], 0x40
	s_load_dwordx4 s[0:3], s[4:5], 0xa8
	s_load_dwordx2 s[74:75], s[4:5], 0xb8
	s_load_dwordx4 s[16:19], s[4:5], 0x0
	s_load_dwordx2 s[72:73], s[4:5], 0x10
	s_load_dword s33, s[4:5], 0xc0
	s_waitcnt lgkmcnt(0)
	v_mul_hi_u32 v2, s8, v0
	v_mov_b32_e32 v9, s17
	v_mov_b32_e32 v41, s19
	v_add_u32_e32 v2, v0, v2
	v_lshrrev_b32_e32 v2, s9, v2
	v_mul_hi_u32 v3, v2, s11
	v_mul_lo_u32 v7, v2, s10
	v_add_u32_e32 v3, v2, v3
	v_lshrrev_b32_e32 v5, s12, v3
	v_mul_lo_u32 v3, v5, s13
	v_mul_hi_u32 v4, v5, s14
	v_sub_u32_e32 v0, v0, v7
	v_sub_u32_e32 v39, v2, v3
	v_add_u32_e32 v3, v5, v4
	v_lshrrev_b32_e32 v36, s15, v3
	v_mad_u64_u32 v[3:4], s[6:7], s56, v39, 0
	v_mul_lo_u32 v6, v36, s0
	v_mad_u64_u32 v[37:38], s[6:7], s62, v39, 0
	v_mov_b32_e32 v2, v4
	v_sub_u32_e32 v35, v5, v6
	v_mad_u64_u32 v[4:5], s[6:7], s57, v39, v[2:3]
	v_mad_u64_u32 v[5:6], s[6:7], s58, v35, 0
	v_lshlrev_b64 v[2:3], 2, v[3:4]
	v_mul_hi_u32 v40, v35, s1
	v_mov_b32_e32 v4, v6
	v_mad_u64_u32 v[6:7], s[6:7], s59, v35, v[4:5]
	v_mad_u64_u32 v[7:8], s[6:7], s60, v36, 0
	v_add_co_u32_e32 v10, vcc, s16, v2
	v_mov_b32_e32 v4, v8
	v_addc_co_u32_e32 v9, vcc, v9, v3, vcc
	v_lshlrev_b64 v[2:3], 2, v[5:6]
	v_mad_u64_u32 v[4:5], s[6:7], s61, v36, v[4:5]
	v_add_co_u32_e32 v5, vcc, v10, v2
	v_mov_b32_e32 v8, v4
	v_addc_co_u32_e32 v6, vcc, v9, v3, vcc
	v_lshlrev_b64 v[2:3], 2, v[7:8]
	v_mov_b32_e32 v34, v38
	v_add_co_u32_e32 v4, vcc, v5, v2
	v_addc_co_u32_e32 v5, vcc, v6, v3, vcc
	v_lshlrev_b64 v[2:3], 2, v[0:1]
	v_mad_u64_u32 v[38:39], s[0:1], s63, v39, v[34:35]
	v_add_co_u32_e32 v2, vcc, v4, v2
	v_addc_co_u32_e32 v3, vcc, v5, v3, vcc
	global_load_dwordx4 v[26:29], v[2:3], off
	global_load_dwordx4 v[18:21], v[2:3], off offset:16
	global_load_dwordx4 v[14:17], v[2:3], off offset:32
	;; [unrolled: 1-line block ×6, first 2 shown]
	s_nop 0
	global_load_dwordx4 v[2:5], v[2:3], off offset:112
	v_add_u32_e32 v34, v35, v40
	v_lshrrev_b32_e32 v34, s2, v34
	v_mul_lo_u32 v34, v34, s3
	v_lshlrev_b64 v[37:38], 2, v[37:38]
	v_mul_hi_u32 v42, v36, s74
	v_add_co_u32_e32 v44, vcc, s18, v37
	v_sub_u32_e32 v43, v35, v34
	v_mad_u64_u32 v[39:40], s[0:1], s64, v43, 0
	v_addc_co_u32_e32 v41, vcc, v41, v38, vcc
	v_mov_b32_e32 v34, v40
	v_mad_u64_u32 v[37:38], s[0:1], s65, v43, v[34:35]
	v_add_u32_e32 v38, v36, v42
	v_lshrrev_b32_e32 v38, s75, v38
	v_mul_lo_u32 v42, v38, s33
	v_mov_b32_e32 v40, v37
	v_lshlrev_b64 v[37:38], 2, v[39:40]
	v_lshrrev_b32_e32 v0, 5, v0
	v_sub_u32_e32 v42, v36, v42
	v_mad_u64_u32 v[39:40], s[64:65], s66, v42, 0
	v_add_co_u32_e64 v44, s[64:65], v44, v37
	v_addc_co_u32_e64 v41, s[64:65], v41, v38, s[64:65]
	s_waitcnt vmcnt(7)
	v_cmp_lg_f32_e32 vcc, 0, v26
	v_cndmask_b32_e64 v34, 0, |v26|, vcc
	v_cmp_lt_f32_e64 s[0:1], v34, |v27|
	v_cndmask_b32_e64 v34, v34, |v27|, s[0:1]
	v_cmp_lt_f32_e64 s[2:3], v34, |v28|
	v_cndmask_b32_e64 v34, v34, |v28|, s[2:3]
	v_cmp_lt_f32_e64 s[6:7], v34, |v29|
	v_cndmask_b32_e64 v34, v34, |v29|, s[6:7]
	s_waitcnt vmcnt(6)
	v_cmp_lt_f32_e64 s[8:9], v34, |v18|
	v_cndmask_b32_e64 v34, v34, |v18|, s[8:9]
	v_cmp_lt_f32_e64 s[10:11], v34, |v19|
	v_cndmask_b32_e64 v34, v34, |v19|, s[10:11]
	v_cmp_lt_f32_e64 s[12:13], v34, |v20|
	v_cndmask_b32_e64 v34, v34, |v20|, s[12:13]
	v_cmp_lt_f32_e64 s[14:15], v34, |v21|
	v_cndmask_b32_e64 v34, v34, |v21|, s[14:15]
	s_waitcnt vmcnt(5)
	v_cmp_lt_f32_e64 s[16:17], v34, |v14|
	v_cndmask_b32_e64 v34, v34, |v14|, s[16:17]
	;; [unrolled: 9-line block ×7, first 2 shown]
	v_cmp_lt_f32_e64 s[60:61], v34, |v3|
	v_cndmask_b32_e64 v34, v34, |v3|, s[60:61]
	v_cmp_lt_f32_e64 s[62:63], v34, |v4|
	v_cndmask_b32_e64 v43, v34, |v4|, s[62:63]
	v_mov_b32_e32 v34, v40
	v_mad_u64_u32 v[37:38], s[64:65], s67, v42, v[34:35]
	v_cndmask_b32_e32 v34, 0, v26, vcc
	v_cndmask_b32_e64 v34, v34, v27, s[0:1]
	v_mov_b32_e32 v40, v37
	v_lshlrev_b64 v[37:38], 2, v[39:40]
	v_cndmask_b32_e64 v34, v34, v28, s[2:3]
	v_add_co_u32_e32 v37, vcc, v44, v37
	v_addc_co_u32_e32 v38, vcc, v41, v38, vcc
	global_load_dword v37, v[37:38], off
	v_cndmask_b32_e64 v34, v34, v29, s[6:7]
	v_cndmask_b32_e64 v34, v34, v18, s[8:9]
	;; [unrolled: 1-line block ×28, first 2 shown]
	v_cmp_lt_f32_e64 vcc, v43, |v5|
	v_cndmask_b32_e32 v38, v34, v5, vcc
	v_mul_f32_e32 v34, 0xbe000000, v38
	v_div_scale_f32 v39, s[0:1], v34, v34, 1.0
	v_div_scale_f32 v40, vcc, 1.0, v34, 1.0
	v_rcp_f32_e32 v41, v39
	v_fma_f32 v42, -v39, v41, 1.0
	v_fmac_f32_e32 v41, v42, v41
	v_mul_f32_e32 v42, v40, v41
	v_fma_f32 v43, -v39, v42, v40
	v_fmac_f32_e32 v42, v43, v41
	v_fma_f32 v39, -v39, v42, v40
	v_div_fmas_f32 v39, v39, v41, v42
	v_cmp_neq_f32_e32 vcc, 0, v34
	v_div_fixup_f32 v39, v39, v34, 1.0
	v_cndmask_b32_e32 v39, 0, v39, vcc
	v_mov_b32_e32 v34, 0x41080000
	v_fma_f32 v42, v28, v39, v34
	v_fma_f32 v48, v18, v39, v34
	;; [unrolled: 1-line block ×6, first 2 shown]
	s_waitcnt vmcnt(0)
	v_ashrrev_i32_e32 v19, 31, v37
	v_mad_u64_u32 v[23:24], s[0:1], s68, v37, 0
	v_fma_f32 v40, v26, v39, v34
	v_fma_f32 v26, v21, v39, v34
	v_mul_lo_u32 v19, s68, v19
	v_mul_lo_u32 v21, s69, v37
	s_load_dwordx2 s[0:1], s[4:5], 0x80
	v_fma_f32 v41, v27, v39, v34
	v_fma_f32 v27, v10, v39, v34
	v_add3_u32 v24, v24, v19, v21
	v_fma_f32 v21, v15, v39, v34
	s_waitcnt lgkmcnt(0)
	v_mad_u64_u32 v[23:24], s[2:3], s0, v36, v[23:24]
	v_fma_f32 v19, v16, v39, v34
	v_fma_f32 v44, v30, v39, v34
	v_mov_b32_e32 v15, v24
	v_mad_u64_u32 v[15:16], s[0:1], s1, v36, v[15:16]
	v_fma_f32 v16, v12, v39, v34
	v_fma_f32 v45, v31, v39, v34
	v_mov_b32_e32 v24, v15
	v_mad_u64_u32 v[23:24], s[0:1], s70, v35, v[23:24]
	v_fma_f32 v15, v11, v39, v34
	v_fma_f32 v11, v13, v39, v34
	v_mov_b32_e32 v10, v24
	v_mad_u64_u32 v[12:13], s[0:1], s71, v35, v[10:11]
	s_mov_b32 s0, 0x8e38e38f
	v_mul_hi_u32 v30, v23, s0
	v_mov_b32_e32 v31, v1
	v_fma_f32 v46, v32, v39, v34
	v_fma_f32 v47, v33, v39, v34
	v_mad_u64_u32 v[30:31], s[0:1], v12, s0, v[30:31]
	v_mov_b32_e32 v33, v1
	s_mov_b32 s2, 0xe38e38e3
	v_mov_b32_e32 v32, v30
	v_mad_u64_u32 v[23:24], s[0:1], v23, s2, v[32:33]
	v_fma_f32 v13, v6, v39, v34
	v_fma_f32 v10, v7, v39, v34
	v_add_co_u32_e32 v6, vcc, v31, v24
	v_addc_co_u32_e64 v7, s[0:1], 0, 0, vcc
	v_mad_u64_u32 v[23:24], s[0:1], v12, s2, v[6:7]
	v_fma_f32 v6, v9, v39, v34
	v_cvt_i32_f32_e32 v9, v44
	v_alignbit_b32 v1, v24, v23, 4
	v_fma_f32 v12, v2, v39, v34
	v_mad_u64_u32 v[1:2], s[0:1], v1, 18, s[72:73]
	v_fma_f32 v7, v3, v39, v34
	v_lshrrev_b32_e32 v3, 4, v24
	v_cvt_f64_i32_e32 v[30:31], v9
	v_mad_u64_u32 v[2:3], s[0:1], v3, 18, v[2:3]
	s_mov_b32 s0, 0
	v_fma_f32 v43, v29, v39, v34
	v_fma_f32 v29, v20, v39, v34
	;; [unrolled: 1-line block ×7, first 2 shown]
	v_fmac_f32_e32 v34, v5, v39
	v_cvt_i32_f32_e32 v5, v40
	s_mov_b32 s1, 0x402e0000
	v_min_f64 v[30:31], v[30:31], s[0:1]
	v_mad_u64_u32 v[0:1], s[2:3], v0, 18, v[1:2]
	v_cvt_f64_i32_e32 v[23:24], v5
	v_cvt_i32_f32_e32 v2, v41
	v_cvt_i32_f32_e32 v17, v42
	s_mov_b32 s2, 0xbe000000
	v_min_f64 v[23:24], v[23:24], s[0:1]
	v_cvt_i32_f64_e32 v9, v[30:31]
	v_cvt_i32_f32_e32 v30, v46
	v_cvt_f64_i32_e32 v[2:3], v2
	v_fma_mixlo_f16 v32, v38, s2, 0
	global_store_short v[0:1], v32, off
	v_cvt_f64_i32_e32 v[30:31], v30
	v_cvt_i32_f32_e32 v20, v20
	v_cvt_i32_f64_e32 v5, v[23:24]
	v_min_f64 v[23:24], v[2:3], s[0:1]
	v_cvt_f64_i32_e32 v[2:3], v17
	v_cvt_i32_f32_e32 v17, v45
	v_min_f64 v[30:31], v[30:31], s[0:1]
	v_cvt_i32_f32_e32 v21, v21
	v_min_f64 v[32:33], v[2:3], s[0:1]
	v_cvt_f64_i32_e32 v[35:36], v17
	v_lshlrev_b16_e32 v2, 4, v9
	v_cvt_i32_f32_e32 v9, v49
	v_or_b32_e32 v2, v2, v5
	v_min_f64 v[35:36], v[35:36], s[0:1]
	v_cvt_i32_f32_e32 v5, v48
	v_cvt_i32_f64_e32 v37, v[30:31]
	v_cvt_f64_i32_e32 v[30:31], v9
	v_cvt_i32_f64_e32 v3, v[23:24]
	v_cvt_f64_i32_e32 v[23:24], v5
	v_cvt_i32_f32_e32 v9, v43
	v_min_f64 v[30:31], v[30:31], s[0:1]
	v_cvt_i32_f64_e32 v17, v[32:33]
	v_cvt_i32_f64_e32 v5, v[35:36]
	v_min_f64 v[23:24], v[23:24], s[0:1]
	v_cvt_i32_f32_e32 v35, v47
	v_cvt_f64_i32_e32 v[32:33], v9
	v_lshlrev_b16_e32 v9, 4, v37
	v_or_b32_e32 v9, v9, v17
	v_cvt_f64_i32_e32 v[35:36], v35
	v_cvt_i32_f32_e32 v17, v22
	v_cvt_i32_f64_e32 v40, v[30:31]
	v_cvt_i32_f32_e32 v22, v28
	v_cvt_i32_f32_e32 v30, v29
	v_cvt_i32_f64_e32 v39, v[23:24]
	v_min_f64 v[23:24], v[35:36], s[0:1]
	v_cvt_i32_f32_e32 v35, v18
	v_cvt_f64_i32_e32 v[17:18], v17
	v_cvt_f64_i32_e32 v[28:29], v22
	;; [unrolled: 1-line block ×3, first 2 shown]
	v_min_f64 v[32:33], v[32:33], s[0:1]
	v_min_f64 v[37:38], v[17:18], s[0:1]
	v_min_f64 v[28:29], v[28:29], s[0:1]
	v_min_f64 v[30:31], v[30:31], s[0:1]
	v_cvt_f64_i32_e32 v[35:36], v35
	v_cvt_i32_f64_e32 v18, v[23:24]
	v_cvt_i32_f32_e32 v16, v16
	v_cvt_i32_f32_e32 v10, v10
	v_cvt_i32_f64_e32 v17, v[32:33]
	v_cvt_i32_f64_e32 v32, v[37:38]
	;; [unrolled: 1-line block ×4, first 2 shown]
	v_cvt_i32_f32_e32 v31, v27
	v_min_f64 v[35:36], v[35:36], s[0:1]
	v_cvt_i32_f32_e32 v30, v25
	v_lshlrev_b16_e32 v29, 4, v32
	v_or_b32_e32 v25, v29, v28
	v_cvt_i32_f32_e32 v32, v26
	v_cvt_f64_i32_e32 v[28:29], v31
	v_cvt_f64_i32_e32 v[26:27], v30
	v_cvt_i32_f32_e32 v8, v8
	v_cvt_f64_i32_e32 v[30:31], v32
	v_min_f64 v[28:29], v[28:29], s[0:1]
	v_cvt_f64_i32_e32 v[32:33], v20
	v_cvt_i32_f64_e32 v24, v[35:36]
	v_min_f64 v[26:27], v[26:27], s[0:1]
	v_cvt_i32_f32_e32 v35, v19
	v_min_f64 v[19:20], v[30:31], s[0:1]
	v_min_f64 v[30:31], v[32:33], s[0:1]
	v_cvt_f64_i32_e32 v[32:33], v21
	v_cvt_f64_i32_e32 v[35:36], v35
	v_cvt_i32_f64_e32 v37, v[28:29]
	v_cvt_i32_f32_e32 v4, v4
	v_cvt_i32_f64_e32 v21, v[26:27]
	v_min_f64 v[26:27], v[32:33], s[0:1]
	v_min_f64 v[28:29], v[35:36], s[0:1]
	v_cvt_i32_f64_e32 v19, v[19:20]
	v_cvt_i32_f64_e32 v20, v[30:31]
	v_lshlrev_b16_e32 v30, 4, v37
	v_or_b32_e32 v21, v30, v21
	v_cvt_i32_f32_e32 v30, v15
	v_cvt_f64_i32_e32 v[15:16], v16
	v_cvt_i32_f64_e32 v32, v[26:27]
	v_cvt_i32_f64_e32 v33, v[28:29]
	v_cvt_f64_i32_e32 v[26:27], v30
	v_cvt_i32_f32_e32 v28, v14
	v_cvt_i32_f32_e32 v29, v13
	v_min_f64 v[13:14], v[15:16], s[0:1]
	v_min_f64 v[15:16], v[26:27], s[0:1]
	v_cvt_f64_i32_e32 v[26:27], v28
	v_cvt_f64_i32_e32 v[28:29], v29
	v_cvt_i32_f32_e32 v30, v12
	v_cvt_i32_f32_e32 v31, v11
	v_min_f64 v[11:12], v[26:27], s[0:1]
	v_min_f64 v[26:27], v[28:29], s[0:1]
	v_cvt_f64_i32_e32 v[28:29], v30
	v_cvt_i32_f64_e32 v35, v[13:14]
	v_cvt_f64_i32_e32 v[30:31], v31
	v_cvt_i32_f64_e32 v36, v[15:16]
	v_min_f64 v[13:14], v[28:29], s[0:1]
	v_lshlrev_b16_e32 v28, 4, v35
	v_min_f64 v[15:16], v[30:31], s[0:1]
	v_cvt_i32_f64_e32 v31, v[11:12]
	v_cvt_f64_i32_e32 v[10:11], v10
	v_or_b32_e32 v30, v28, v33
	v_cvt_i32_f64_e32 v33, v[26:27]
	v_lshlrev_b16_e32 v22, 4, v40
	v_cvt_i32_f64_e32 v35, v[13:14]
	v_cvt_f64_i32_e32 v[12:13], v8
	v_cvt_i32_f32_e32 v14, v7
	v_min_f64 v[7:8], v[10:11], s[0:1]
	v_cvt_i32_f64_e32 v16, v[15:16]
	v_min_f64 v[10:11], v[12:13], s[0:1]
	v_cvt_f64_i32_e32 v[12:13], v4
	v_cvt_i32_f32_e32 v4, v6
	v_cvt_i32_f32_e32 v6, v34
	v_cvt_f64_i32_e32 v[14:15], v14
	v_min_f64 v[12:13], v[12:13], s[0:1]
	v_cvt_f64_i32_e32 v[26:27], v4
	v_cvt_f64_i32_e32 v[28:29], v6
	v_min_f64 v[14:15], v[14:15], s[0:1]
	v_cvt_i32_f64_e32 v10, v[10:11]
	v_min_f64 v[26:27], v[26:27], s[0:1]
	v_min_f64 v[28:29], v[28:29], s[0:1]
	v_cvt_i32_f64_e32 v7, v[7:8]
	v_cvt_i32_f64_e32 v6, v[12:13]
	v_lshlrev_b16_e32 v4, 4, v35
	v_or_b32_e32 v4, v4, v33
	v_cvt_i32_f64_e32 v8, v[14:15]
	v_lshlrev_b16_e32 v6, 4, v6
	v_or_b32_e32 v6, v6, v10
	v_cvt_i32_f64_e32 v10, v[26:27]
	v_cvt_i32_f64_e32 v11, v[28:29]
	v_lshlrev_b16_e32 v7, 8, v7
	v_lshlrev_b16_e32 v8, 12, v8
	v_or_b32_e32 v7, v8, v7
	v_or_b32_sdwa v4, v4, v7 dst_sel:DWORD dst_unused:UNUSED_PAD src0_sel:BYTE_0 src1_sel:DWORD
	v_lshlrev_b16_e32 v7, 8, v10
	v_lshlrev_b16_e32 v8, 12, v11
	v_or_b32_e32 v7, v8, v7
	v_or_b32_sdwa v6, v6, v7 dst_sel:WORD_1 dst_unused:UNUSED_PAD src0_sel:BYTE_0 src1_sel:DWORD
	v_lshlrev_b16_e32 v7, 8, v32
	v_lshlrev_b16_e32 v8, 12, v36
	v_or_b32_e32 v7, v8, v7
	v_lshlrev_b16_e32 v8, 8, v31
	v_lshlrev_b16_e32 v10, 12, v16
	v_or_b32_e32 v8, v10, v8
	v_or_b32_sdwa v7, v21, v7 dst_sel:DWORD dst_unused:UNUSED_PAD src0_sel:BYTE_0 src1_sel:DWORD
	v_or_b32_sdwa v10, v30, v8 dst_sel:WORD_1 dst_unused:UNUSED_PAD src0_sel:BYTE_0 src1_sel:DWORD
	v_or_b32_sdwa v8, v4, v6 dst_sel:DWORD dst_unused:UNUSED_PAD src0_sel:WORD_0 src1_sel:DWORD
	v_lshlrev_b16_e32 v4, 8, v23
	v_lshlrev_b16_e32 v6, 12, v24
	v_or_b32_sdwa v7, v7, v10 dst_sel:DWORD dst_unused:UNUSED_PAD src0_sel:WORD_0 src1_sel:DWORD
	v_or_b32_e32 v4, v6, v4
	v_lshlrev_b16_e32 v6, 8, v19
	v_lshlrev_b16_e32 v10, 12, v20
	v_or_b32_e32 v22, v22, v39
	v_or_b32_e32 v6, v10, v6
	v_or_b32_sdwa v4, v22, v4 dst_sel:DWORD dst_unused:UNUSED_PAD src0_sel:BYTE_0 src1_sel:DWORD
	v_or_b32_sdwa v6, v25, v6 dst_sel:WORD_1 dst_unused:UNUSED_PAD src0_sel:BYTE_0 src1_sel:DWORD
	v_or_b32_sdwa v6, v4, v6 dst_sel:DWORD dst_unused:UNUSED_PAD src0_sel:WORD_0 src1_sel:DWORD
	v_lshlrev_b16_e32 v3, 8, v3
	v_lshlrev_b16_e32 v4, 12, v5
	v_or_b32_e32 v3, v4, v3
	v_or_b32_sdwa v2, v2, v3 dst_sel:DWORD dst_unused:UNUSED_PAD src0_sel:BYTE_0 src1_sel:DWORD
	v_lshlrev_b16_e32 v3, 8, v17
	v_lshlrev_b16_e32 v4, 12, v18
	v_or_b32_e32 v3, v4, v3
	v_or_b32_sdwa v3, v9, v3 dst_sel:WORD_1 dst_unused:UNUSED_PAD src0_sel:BYTE_0 src1_sel:DWORD
	v_or_b32_sdwa v5, v2, v3 dst_sel:DWORD dst_unused:UNUSED_PAD src0_sel:WORD_0 src1_sel:DWORD
	global_store_dwordx4 v[0:1], v[5:8], off offset:2
.LBB12_2:
	s_endpgm
	.section	.rodata,"a",@progbits
	.p2align	6, 0x0
	.amdhsa_kernel _ZL16k_set_rows_quantIi10block_q4_0Li32ETnPFvPKfPT0_EXadL_ZL23quantize_f32_q4_0_blockS2_PS0_EEEvS2_PKT_S4_llllllllllllll15HIP_vector_typeIjLj3EESC_SC_SC_SC_
		.amdhsa_group_segment_fixed_size 0
		.amdhsa_private_segment_fixed_size 0
		.amdhsa_kernarg_size 456
		.amdhsa_user_sgpr_count 6
		.amdhsa_user_sgpr_private_segment_buffer 1
		.amdhsa_user_sgpr_dispatch_ptr 0
		.amdhsa_user_sgpr_queue_ptr 0
		.amdhsa_user_sgpr_kernarg_segment_ptr 1
		.amdhsa_user_sgpr_dispatch_id 0
		.amdhsa_user_sgpr_flat_scratch_init 0
		.amdhsa_user_sgpr_private_segment_size 0
		.amdhsa_uses_dynamic_stack 0
		.amdhsa_system_sgpr_private_segment_wavefront_offset 0
		.amdhsa_system_sgpr_workgroup_id_x 1
		.amdhsa_system_sgpr_workgroup_id_y 0
		.amdhsa_system_sgpr_workgroup_id_z 0
		.amdhsa_system_sgpr_workgroup_info 0
		.amdhsa_system_vgpr_workitem_id 0
		.amdhsa_next_free_vgpr 50
		.amdhsa_next_free_sgpr 76
		.amdhsa_reserve_vcc 1
		.amdhsa_reserve_flat_scratch 0
		.amdhsa_float_round_mode_32 0
		.amdhsa_float_round_mode_16_64 0
		.amdhsa_float_denorm_mode_32 3
		.amdhsa_float_denorm_mode_16_64 3
		.amdhsa_dx10_clamp 1
		.amdhsa_ieee_mode 1
		.amdhsa_fp16_overflow 0
		.amdhsa_exception_fp_ieee_invalid_op 0
		.amdhsa_exception_fp_denorm_src 0
		.amdhsa_exception_fp_ieee_div_zero 0
		.amdhsa_exception_fp_ieee_overflow 0
		.amdhsa_exception_fp_ieee_underflow 0
		.amdhsa_exception_fp_ieee_inexact 0
		.amdhsa_exception_int_div_zero 0
	.end_amdhsa_kernel
	.section	.text._ZL16k_set_rows_quantIi10block_q4_0Li32ETnPFvPKfPT0_EXadL_ZL23quantize_f32_q4_0_blockS2_PS0_EEEvS2_PKT_S4_llllllllllllll15HIP_vector_typeIjLj3EESC_SC_SC_SC_,"axG",@progbits,_ZL16k_set_rows_quantIi10block_q4_0Li32ETnPFvPKfPT0_EXadL_ZL23quantize_f32_q4_0_blockS2_PS0_EEEvS2_PKT_S4_llllllllllllll15HIP_vector_typeIjLj3EESC_SC_SC_SC_,comdat
.Lfunc_end12:
	.size	_ZL16k_set_rows_quantIi10block_q4_0Li32ETnPFvPKfPT0_EXadL_ZL23quantize_f32_q4_0_blockS2_PS0_EEEvS2_PKT_S4_llllllllllllll15HIP_vector_typeIjLj3EESC_SC_SC_SC_, .Lfunc_end12-_ZL16k_set_rows_quantIi10block_q4_0Li32ETnPFvPKfPT0_EXadL_ZL23quantize_f32_q4_0_blockS2_PS0_EEEvS2_PKT_S4_llllllllllllll15HIP_vector_typeIjLj3EESC_SC_SC_SC_
                                        ; -- End function
	.set _ZL16k_set_rows_quantIi10block_q4_0Li32ETnPFvPKfPT0_EXadL_ZL23quantize_f32_q4_0_blockS2_PS0_EEEvS2_PKT_S4_llllllllllllll15HIP_vector_typeIjLj3EESC_SC_SC_SC_.num_vgpr, 50
	.set _ZL16k_set_rows_quantIi10block_q4_0Li32ETnPFvPKfPT0_EXadL_ZL23quantize_f32_q4_0_blockS2_PS0_EEEvS2_PKT_S4_llllllllllllll15HIP_vector_typeIjLj3EESC_SC_SC_SC_.num_agpr, 0
	.set _ZL16k_set_rows_quantIi10block_q4_0Li32ETnPFvPKfPT0_EXadL_ZL23quantize_f32_q4_0_blockS2_PS0_EEEvS2_PKT_S4_llllllllllllll15HIP_vector_typeIjLj3EESC_SC_SC_SC_.numbered_sgpr, 76
	.set _ZL16k_set_rows_quantIi10block_q4_0Li32ETnPFvPKfPT0_EXadL_ZL23quantize_f32_q4_0_blockS2_PS0_EEEvS2_PKT_S4_llllllllllllll15HIP_vector_typeIjLj3EESC_SC_SC_SC_.num_named_barrier, 0
	.set _ZL16k_set_rows_quantIi10block_q4_0Li32ETnPFvPKfPT0_EXadL_ZL23quantize_f32_q4_0_blockS2_PS0_EEEvS2_PKT_S4_llllllllllllll15HIP_vector_typeIjLj3EESC_SC_SC_SC_.private_seg_size, 0
	.set _ZL16k_set_rows_quantIi10block_q4_0Li32ETnPFvPKfPT0_EXadL_ZL23quantize_f32_q4_0_blockS2_PS0_EEEvS2_PKT_S4_llllllllllllll15HIP_vector_typeIjLj3EESC_SC_SC_SC_.uses_vcc, 1
	.set _ZL16k_set_rows_quantIi10block_q4_0Li32ETnPFvPKfPT0_EXadL_ZL23quantize_f32_q4_0_blockS2_PS0_EEEvS2_PKT_S4_llllllllllllll15HIP_vector_typeIjLj3EESC_SC_SC_SC_.uses_flat_scratch, 0
	.set _ZL16k_set_rows_quantIi10block_q4_0Li32ETnPFvPKfPT0_EXadL_ZL23quantize_f32_q4_0_blockS2_PS0_EEEvS2_PKT_S4_llllllllllllll15HIP_vector_typeIjLj3EESC_SC_SC_SC_.has_dyn_sized_stack, 0
	.set _ZL16k_set_rows_quantIi10block_q4_0Li32ETnPFvPKfPT0_EXadL_ZL23quantize_f32_q4_0_blockS2_PS0_EEEvS2_PKT_S4_llllllllllllll15HIP_vector_typeIjLj3EESC_SC_SC_SC_.has_recursion, 0
	.set _ZL16k_set_rows_quantIi10block_q4_0Li32ETnPFvPKfPT0_EXadL_ZL23quantize_f32_q4_0_blockS2_PS0_EEEvS2_PKT_S4_llllllllllllll15HIP_vector_typeIjLj3EESC_SC_SC_SC_.has_indirect_call, 0
	.section	.AMDGPU.csdata,"",@progbits
; Kernel info:
; codeLenInByte = 2876
; TotalNumSgprs: 80
; NumVgprs: 50
; ScratchSize: 0
; MemoryBound: 0
; FloatMode: 240
; IeeeMode: 1
; LDSByteSize: 0 bytes/workgroup (compile time only)
; SGPRBlocks: 9
; VGPRBlocks: 12
; NumSGPRsForWavesPerEU: 80
; NumVGPRsForWavesPerEU: 50
; Occupancy: 4
; WaveLimiterHint : 1
; COMPUTE_PGM_RSRC2:SCRATCH_EN: 0
; COMPUTE_PGM_RSRC2:USER_SGPR: 6
; COMPUTE_PGM_RSRC2:TRAP_HANDLER: 0
; COMPUTE_PGM_RSRC2:TGID_X_EN: 1
; COMPUTE_PGM_RSRC2:TGID_Y_EN: 0
; COMPUTE_PGM_RSRC2:TGID_Z_EN: 0
; COMPUTE_PGM_RSRC2:TIDIG_COMP_CNT: 0
	.section	.text._ZL16k_set_rows_quantIi10block_q4_1Li32ETnPFvPKfPT0_EXadL_ZL23quantize_f32_q4_1_blockS2_PS0_EEEvS2_PKT_S4_llllllllllllll15HIP_vector_typeIjLj3EESC_SC_SC_SC_,"axG",@progbits,_ZL16k_set_rows_quantIi10block_q4_1Li32ETnPFvPKfPT0_EXadL_ZL23quantize_f32_q4_1_blockS2_PS0_EEEvS2_PKT_S4_llllllllllllll15HIP_vector_typeIjLj3EESC_SC_SC_SC_,comdat
	.globl	_ZL16k_set_rows_quantIi10block_q4_1Li32ETnPFvPKfPT0_EXadL_ZL23quantize_f32_q4_1_blockS2_PS0_EEEvS2_PKT_S4_llllllllllllll15HIP_vector_typeIjLj3EESC_SC_SC_SC_ ; -- Begin function _ZL16k_set_rows_quantIi10block_q4_1Li32ETnPFvPKfPT0_EXadL_ZL23quantize_f32_q4_1_blockS2_PS0_EEEvS2_PKT_S4_llllllllllllll15HIP_vector_typeIjLj3EESC_SC_SC_SC_
	.p2align	8
	.type	_ZL16k_set_rows_quantIi10block_q4_1Li32ETnPFvPKfPT0_EXadL_ZL23quantize_f32_q4_1_blockS2_PS0_EEEvS2_PKT_S4_llllllllllllll15HIP_vector_typeIjLj3EESC_SC_SC_SC_,@function
_ZL16k_set_rows_quantIi10block_q4_1Li32ETnPFvPKfPT0_EXadL_ZL23quantize_f32_q4_1_blockS2_PS0_EEEvS2_PKT_S4_llllllllllllll15HIP_vector_typeIjLj3EESC_SC_SC_SC_: ; @_ZL16k_set_rows_quantIi10block_q4_1Li32ETnPFvPKfPT0_EXadL_ZL23quantize_f32_q4_1_blockS2_PS0_EEEvS2_PKT_S4_llllllllllllll15HIP_vector_typeIjLj3EESC_SC_SC_SC_
; %bb.0:
	s_load_dword s2, s[4:5], 0xd4
	s_load_dwordx2 s[0:1], s[4:5], 0x18
	v_mov_b32_e32 v1, 0
	v_mov_b32_e32 v2, s6
	s_waitcnt lgkmcnt(0)
	s_and_b32 s2, s2, 0xffff
	v_mad_u64_u32 v[2:3], s[2:3], s2, v2, v[0:1]
	v_cmp_gt_i64_e32 vcc, s[0:1], v[2:3]
	s_and_saveexec_b64 s[0:1], vcc
	s_cbranch_execz .LBB13_2
; %bb.1:
	s_load_dwordx8 s[24:31], s[4:5], 0x88
	v_lshlrev_b32_e32 v0, 5, v2
	s_load_dwordx16 s[8:23], s[4:5], 0x40
	s_load_dwordx4 s[0:3], s[4:5], 0xa8
	s_load_dwordx4 s[36:39], s[4:5], 0x0
	s_load_dwordx2 s[6:7], s[4:5], 0x10
	s_waitcnt lgkmcnt(0)
	v_mul_hi_u32 v2, s24, v0
	v_mov_b32_e32 v10, s37
	v_mov_b32_e32 v20, s39
	v_add_u32_e32 v2, v0, v2
	v_lshrrev_b32_e32 v2, s25, v2
	v_mul_hi_u32 v3, v2, s27
	v_mul_lo_u32 v8, v2, s26
	v_add_u32_e32 v3, v2, v3
	v_lshrrev_b32_e32 v3, s28, v3
	v_mul_lo_u32 v4, v3, s29
	v_mul_hi_u32 v5, v3, s30
	v_sub_u32_e32 v0, v0, v8
	v_sub_u32_e32 v18, v2, v4
	v_add_u32_e32 v4, v3, v5
	v_lshrrev_b32_e32 v31, s31, v4
	v_mad_u64_u32 v[4:5], s[24:25], s8, v18, 0
	v_mul_lo_u32 v6, v31, s0
	s_load_dword s0, s[4:5], 0xc0
	v_mov_b32_e32 v2, v5
	v_sub_u32_e32 v30, v3, v6
	v_mad_u64_u32 v[2:3], s[8:9], s9, v18, v[2:3]
	v_mad_u64_u32 v[6:7], s[8:9], s10, v30, 0
	v_mov_b32_e32 v5, v2
	v_lshlrev_b64 v[2:3], 2, v[4:5]
	v_mov_b32_e32 v4, v7
	v_mad_u64_u32 v[4:5], s[8:9], s11, v30, v[4:5]
	v_mad_u64_u32 v[8:9], s[8:9], s12, v31, 0
	v_mov_b32_e32 v7, v4
	v_add_co_u32_e32 v11, vcc, s36, v2
	v_mov_b32_e32 v4, v9
	v_mad_u64_u32 v[4:5], s[8:9], s13, v31, v[4:5]
	v_addc_co_u32_e32 v10, vcc, v10, v3, vcc
	v_lshlrev_b64 v[2:3], 2, v[6:7]
	v_mov_b32_e32 v9, v4
	v_add_co_u32_e32 v5, vcc, v11, v2
	v_addc_co_u32_e32 v6, vcc, v10, v3, vcc
	v_lshlrev_b64 v[2:3], 2, v[8:9]
	s_load_dwordx2 s[8:9], s[4:5], 0xb8
	v_add_co_u32_e32 v4, vcc, v5, v2
	v_addc_co_u32_e32 v5, vcc, v6, v3, vcc
	v_lshlrev_b64 v[2:3], 2, v[0:1]
	v_mad_u64_u32 v[8:9], s[10:11], s14, v18, 0
	v_add_co_u32_e32 v6, vcc, v4, v2
	v_addc_co_u32_e32 v7, vcc, v5, v3, vcc
	global_load_dwordx4 v[41:44], v[6:7], off
	global_load_dwordx4 v[14:17], v[6:7], off offset:16
	global_load_dwordx4 v[10:13], v[6:7], off offset:32
	s_waitcnt lgkmcnt(0)
	v_mul_hi_u32 v2, v31, s8
	global_load_dwordx4 v[26:29], v[6:7], off offset:64
	global_load_dwordx4 v[22:25], v[6:7], off offset:80
	s_mov_b32 s8, 0x41700000
	v_add_u32_e32 v21, v31, v2
	global_load_dwordx4 v[2:5], v[6:7], off offset:48
	v_lshrrev_b32_e32 v0, 5, v0
	s_waitcnt vmcnt(3)
	v_mad_u64_u32 v[18:19], s[10:11], s15, v18, v[9:10]
	v_lshrrev_b32_e32 v9, s9, v21
	v_mul_hi_u32 v19, v30, s1
	v_mul_lo_u32 v21, v9, s0
	v_mov_b32_e32 v9, v18
	v_lshlrev_b64 v[8:9], 2, v[8:9]
	v_add_u32_e32 v18, v30, v19
	v_sub_u32_e32 v19, v31, v21
	v_lshrrev_b32_e32 v18, s2, v18
	v_mad_u64_u32 v[32:33], s[0:1], s18, v19, 0
	v_mul_lo_u32 v18, v18, s3
	v_add_co_u32_e32 v37, vcc, s38, v8
	v_mov_b32_e32 v8, v33
	v_addc_co_u32_e32 v38, vcc, v20, v9, vcc
	v_sub_u32_e32 v36, v30, v18
	v_mad_u64_u32 v[8:9], s[0:1], s19, v19, v[8:9]
	global_load_dwordx4 v[18:21], v[6:7], off offset:96
	v_mad_u64_u32 v[34:35], s[0:1], s16, v36, 0
	v_mov_b32_e32 v33, v8
	v_lshlrev_b64 v[32:33], 2, v[32:33]
	v_mov_b32_e32 v8, v35
	v_mad_u64_u32 v[35:36], s[0:1], s17, v36, v[8:9]
	global_load_dwordx4 v[6:9], v[6:7], off offset:112
	v_lshlrev_b64 v[34:35], 2, v[34:35]
	v_add_co_u32_e32 v34, vcc, v37, v34
	v_addc_co_u32_e32 v35, vcc, v38, v35, vcc
	v_add_co_u32_e32 v32, vcc, v34, v32
	v_max_f32_e32 v34, v41, v41
	v_addc_co_u32_e32 v33, vcc, v35, v33, vcc
	v_min_f32_e32 v35, 0x7f7fffff, v34
	v_max_f32_e32 v34, 0xff7fffff, v34
	v_cmp_lt_f32_e32 vcc, v42, v35
	v_cndmask_b32_e32 v35, v35, v42, vcc
	v_cmp_gt_f32_e32 vcc, v42, v34
	v_cndmask_b32_e32 v34, v34, v42, vcc
	v_cmp_lt_f32_e32 vcc, v43, v35
	v_cndmask_b32_e32 v35, v35, v43, vcc
	v_cmp_gt_f32_e32 vcc, v43, v34
	v_cndmask_b32_e32 v34, v34, v43, vcc
	;; [unrolled: 4-line block ×3, first 2 shown]
	v_cmp_lt_f32_e32 vcc, v14, v35
	v_cndmask_b32_e32 v35, v35, v14, vcc
	v_cmp_lt_f32_e32 vcc, v15, v35
	v_cndmask_b32_e32 v35, v35, v15, vcc
	;; [unrolled: 2-line block ×8, first 2 shown]
	s_waitcnt vmcnt(2)
	v_cmp_lt_f32_e32 vcc, v2, v35
	v_cndmask_b32_e32 v35, v35, v2, vcc
	v_cmp_lt_f32_e32 vcc, v3, v35
	v_cndmask_b32_e32 v35, v35, v3, vcc
	;; [unrolled: 2-line block ×10, first 2 shown]
	v_cmp_lt_f32_e32 vcc, v24, v35
	global_load_dword v45, v[32:33], off
	v_cndmask_b32_e32 v35, v35, v24, vcc
	v_cmp_lt_f32_e32 vcc, v25, v35
	v_cndmask_b32_e32 v35, v35, v25, vcc
	s_waitcnt vmcnt(2)
	v_cmp_lt_f32_e32 vcc, v18, v35
	v_cndmask_b32_e32 v35, v35, v18, vcc
	v_cmp_lt_f32_e32 vcc, v19, v35
	v_cndmask_b32_e32 v35, v35, v19, vcc
	;; [unrolled: 2-line block ×4, first 2 shown]
	s_waitcnt vmcnt(1)
	v_cmp_lt_f32_e32 vcc, v6, v35
	v_cndmask_b32_e32 v35, v35, v6, vcc
	v_cmp_lt_f32_e32 vcc, v7, v35
	v_cndmask_b32_e32 v35, v35, v7, vcc
	;; [unrolled: 2-line block ×4, first 2 shown]
	v_cmp_gt_f32_e32 vcc, v14, v34
	v_cndmask_b32_e32 v33, v34, v14, vcc
	v_cmp_gt_f32_e32 vcc, v15, v33
	v_cndmask_b32_e32 v33, v33, v15, vcc
	;; [unrolled: 2-line block ×16, first 2 shown]
	v_cmp_gt_f32_e32 vcc, v22, v33
	v_sub_f32_e32 v38, v14, v37
	v_cndmask_b32_e32 v14, v33, v22, vcc
	v_cmp_gt_f32_e32 vcc, v23, v14
	v_cndmask_b32_e32 v14, v14, v23, vcc
	v_cmp_gt_f32_e32 vcc, v24, v14
	;; [unrolled: 2-line block ×4, first 2 shown]
	v_sub_f32_e32 v40, v27, v37
	v_sub_f32_e32 v27, v23, v37
	;; [unrolled: 1-line block ×3, first 2 shown]
	v_cndmask_b32_e32 v10, v14, v18, vcc
	v_cmp_gt_f32_e32 vcc, v19, v10
	v_cndmask_b32_e32 v10, v10, v19, vcc
	v_cmp_gt_f32_e32 vcc, v20, v10
	;; [unrolled: 2-line block ×7, first 2 shown]
	v_cndmask_b32_e32 v14, v14, v9, vcc
	v_sub_f32_e32 v10, v21, v37
	v_sub_f32_e32 v21, v14, v37
	;; [unrolled: 1-line block ×6, first 2 shown]
	v_div_scale_f32 v20, s[0:1], s8, s8, v21
	v_sub_f32_e32 v35, v43, v37
	v_sub_f32_e32 v43, v26, v37
	;; [unrolled: 1-line block ×3, first 2 shown]
	s_waitcnt vmcnt(0)
	v_ashrrev_i32_e32 v17, 31, v45
	v_sub_f32_e32 v34, v29, v37
	v_sub_f32_e32 v29, v15, v37
	;; [unrolled: 1-line block ×7, first 2 shown]
	v_mul_lo_u32 v19, s20, v17
	v_mad_u64_u32 v[17:18], s[0:1], s20, v45, 0
	v_sub_f32_e32 v39, v22, v37
	v_sub_f32_e32 v22, v25, v37
	v_mul_lo_u32 v14, s21, v45
	s_load_dwordx2 s[0:1], s[4:5], 0x80
	v_div_scale_f32 v25, vcc, v21, s8, v21
	v_add3_u32 v18, v18, v19, v14
	v_sub_f32_e32 v41, v41, v37
	s_waitcnt lgkmcnt(0)
	v_mad_u64_u32 v[17:18], s[2:3], s0, v31, v[17:18]
	s_mov_b32 s2, 0xcccccccc
	v_sub_f32_e32 v32, v44, v37
	v_mov_b32_e32 v14, v18
	v_mad_u64_u32 v[18:19], s[0:1], s1, v31, v[14:15]
	v_rcp_f32_e32 v14, v20
	v_sub_f32_e32 v12, v12, v37
	v_mad_u64_u32 v[17:18], s[0:1], s22, v30, v[17:18]
	v_fma_f32 v19, -v20, v14, 1.0
	v_fmac_f32_e32 v14, v19, v14
	v_mul_f32_e32 v19, v25, v14
	v_fma_f32 v31, -v20, v19, v25
	v_fmac_f32_e32 v19, v31, v14
	v_fma_f32 v20, -v20, v19, v25
	v_div_fmas_f32 v25, v20, v14, v19
	v_mov_b32_e32 v14, v18
	v_mad_u64_u32 v[18:19], s[0:1], s23, v30, v[14:15]
	s_mov_b32 s0, 0xcccccccd
	v_mul_hi_u32 v19, v17, s0
	v_mov_b32_e32 v20, v1
	v_mov_b32_e32 v31, v1
	v_mad_u64_u32 v[19:20], s[0:1], v18, s0, v[19:20]
	v_mov_b32_e32 v30, v19
	v_mad_u64_u32 v[30:31], s[0:1], v17, s2, v[30:31]
	v_div_fixup_f32 v25, v25, s8, v21
	v_div_scale_f32 v14, s[0:1], v25, v25, 1.0
	v_div_scale_f32 v17, vcc, 1.0, v25, 1.0
	v_add_co_u32_e64 v1, s[0:1], v20, v31
	v_rcp_f32_e32 v19, v14
	v_fma_f32 v20, -v14, v19, 1.0
	v_fmac_f32_e32 v19, v20, v19
	v_mul_f32_e32 v21, v17, v19
	v_fma_f32 v20, -v14, v21, v17
	v_fmac_f32_e32 v21, v20, v19
	v_fma_f32 v14, -v14, v21, v17
	v_div_fmas_f32 v30, v14, v19, v21
	v_sub_f32_e32 v20, v2, v37
	v_addc_co_u32_e64 v2, s[0:1], 0, 0, s[0:1]
	v_mad_u64_u32 v[1:2], s[0:1], v18, s2, v[1:2]
	v_sub_f32_e32 v17, v3, v37
	v_sub_f32_e32 v3, v5, v37
	v_alignbit_b32 v1, v2, v1, 4
	v_mad_u64_u32 v[18:19], s[0:1], v1, 20, s[6:7]
	v_cmp_neq_f32_e32 vcc, 0, v25
	v_sub_f32_e32 v14, v4, v37
	v_sub_f32_e32 v4, v9, v37
	;; [unrolled: 1-line block ×4, first 2 shown]
	v_div_fixup_f32 v5, v30, v25, 1.0
	v_cndmask_b32_e32 v5, 0, v5, vcc
	v_fma_f32 v9, v43, v5, 0.5
	v_sub_f32_e32 v7, v8, v37
	v_fma_f32 v8, v41, v5, 0.5
	v_cvt_i32_f32_e32 v9, v9
	v_mov_b32_e32 v1, v19
	v_cvt_i32_f32_e32 v19, v8
	v_lshrrev_b32_e32 v2, 4, v2
	v_cvt_f64_i32_e32 v[8:9], v9
	v_mad_u64_u32 v[1:2], s[0:1], v2, 20, v[1:2]
	v_cvt_f64_i32_e32 v[30:31], v19
	s_mov_b32 s0, 0
	s_mov_b32 s1, 0x402e0000
	v_min_f64 v[8:9], v[8:9], s[0:1]
	v_min_f64 v[30:31], v[30:31], s[0:1]
	v_mov_b32_e32 v19, v1
	v_cvt_f16_f32_e32 v2, v25
	v_cvt_f16_f32_e32 v25, v37
	v_mad_u64_u32 v[0:1], s[2:3], v0, 20, v[18:19]
	v_fma_f32 v28, v28, v5, 0.5
	v_cvt_i32_f64_e32 v8, v[8:9]
	v_cvt_i32_f64_e32 v9, v[30:31]
	v_pack_b32_f16 v2, v2, v25
	global_store_dword v[0:1], v2, off
	v_lshlrev_b16_e32 v2, 4, v8
	v_or_b32_e32 v2, v2, v9
	v_fma_f32 v9, v35, v5, 0.5
	v_cvt_i32_f32_e32 v18, v9
	v_fma_f32 v9, v42, v5, 0.5
	v_cvt_i32_f32_e32 v25, v9
	v_fma_f32 v8, v36, v5, 0.5
	v_cvt_f64_i32_e32 v[18:19], v18
	v_fma_f32 v9, v40, v5, 0.5
	v_cvt_f64_i32_e32 v[30:31], v25
	v_cvt_i32_f32_e32 v8, v8
	v_min_f64 v[18:19], v[18:19], s[0:1]
	v_cvt_i32_f32_e32 v35, v9
	v_fma_f32 v25, v32, v5, 0.5
	v_min_f64 v[30:31], v[30:31], s[0:1]
	v_cvt_i32_f32_e32 v25, v25
	v_cvt_f64_i32_e32 v[8:9], v8
	v_cvt_f64_i32_e32 v[35:36], v35
	v_fma_f32 v32, v38, v5, 0.5
	v_cvt_i32_f64_e32 v40, v[18:19]
	v_cvt_f64_i32_e32 v[18:19], v25
	v_min_f64 v[8:9], v[8:9], s[0:1]
	v_min_f64 v[35:36], v[35:36], s[0:1]
	v_cvt_i32_f32_e32 v32, v32
	v_cvt_i32_f64_e32 v25, v[30:31]
	v_min_f64 v[30:31], v[18:19], s[0:1]
	v_fma_f32 v18, v39, v5, 0.5
	v_cvt_f64_i32_e32 v[37:38], v32
	v_cvt_i32_f32_e32 v19, v18
	v_fma_f32 v18, v34, v5, 0.5
	v_cvt_i32_f64_e32 v8, v[8:9]
	v_cvt_i32_f64_e32 v9, v[35:36]
	v_min_f64 v[35:36], v[37:38], s[0:1]
	v_cvt_i32_f32_e32 v32, v18
	v_cvt_f64_i32_e32 v[37:38], v19
	v_lshlrev_b16_e32 v18, 4, v25
	v_or_b32_e32 v18, v18, v40
	v_cvt_f64_i32_e32 v[39:40], v32
	v_cvt_i32_f64_e32 v19, v[30:31]
	v_min_f64 v[30:31], v[37:38], s[0:1]
	v_fma_f32 v25, v29, v5, 0.5
	v_cvt_i32_f64_e32 v36, v[35:36]
	v_min_f64 v[34:35], v[39:40], s[0:1]
	v_cvt_i32_f32_e32 v25, v25
	v_cvt_i32_f32_e32 v32, v28
	v_fma_f32 v28, v33, v5, 0.5
	v_cvt_i32_f32_e32 v33, v28
	v_cvt_f64_i32_e32 v[28:29], v25
	v_cvt_i32_f64_e32 v37, v[30:31]
	v_cvt_f64_i32_e32 v[30:31], v32
	v_fma_f32 v27, v27, v5, 0.5
	v_cvt_f64_i32_e32 v[32:33], v33
	v_min_f64 v[28:29], v[28:29], s[0:1]
	v_cvt_i32_f64_e32 v25, v[34:35]
	v_min_f64 v[30:31], v[30:31], s[0:1]
	v_cvt_i32_f32_e32 v34, v27
	v_min_f64 v[32:33], v[32:33], s[0:1]
	v_fma_f32 v23, v23, v5, 0.5
	v_cvt_i32_f32_e32 v23, v23
	v_cvt_f64_i32_e32 v[34:35], v34
	v_cvt_i32_f64_e32 v28, v[28:29]
	v_fma_f32 v26, v26, v5, 0.5
	v_cvt_i32_f64_e32 v39, v[30:31]
	v_min_f64 v[29:30], v[34:35], s[0:1]
	v_cvt_i32_f32_e32 v26, v26
	v_cvt_i32_f64_e32 v40, v[32:33]
	v_fma_f32 v24, v24, v5, 0.5
	v_cvt_f64_i32_e32 v[33:34], v23
	v_cvt_i32_f32_e32 v24, v24
	v_fma_f32 v22, v22, v5, 0.5
	v_lshlrev_b16_e32 v27, 4, v37
	v_cvt_f64_i32_e32 v[31:32], v26
	v_cvt_i32_f32_e32 v22, v22
	v_cvt_i32_f64_e32 v23, v[29:30]
	v_min_f64 v[29:30], v[33:34], s[0:1]
	v_or_b32_e32 v27, v27, v36
	v_cvt_f64_i32_e32 v[35:36], v24
	v_fma_f32 v15, v15, v5, 0.5
	v_fma_f32 v12, v12, v5, 0.5
	v_min_f64 v[31:32], v[31:32], s[0:1]
	v_cvt_f64_i32_e32 v[37:38], v22
	v_cvt_i32_f32_e32 v26, v15
	v_cvt_i32_f32_e32 v12, v12
	v_min_f64 v[33:34], v[35:36], s[0:1]
	v_fma_f32 v16, v16, v5, 0.5
	v_fma_f32 v13, v13, v5, 0.5
	v_min_f64 v[35:36], v[37:38], s[0:1]
	v_cvt_i32_f64_e32 v37, v[29:30]
	v_cvt_f64_i32_e32 v[29:30], v26
	v_cvt_i32_f32_e32 v16, v16
	v_cvt_i32_f32_e32 v26, v13
	v_cvt_f64_i32_e32 v[12:13], v12
	v_cvt_i32_f64_e32 v24, v[31:32]
	v_cvt_f64_i32_e32 v[31:32], v16
	v_cvt_i32_f64_e32 v38, v[33:34]
	v_min_f64 v[12:13], v[12:13], s[0:1]
	v_min_f64 v[29:30], v[29:30], s[0:1]
	v_fma_f32 v11, v11, v5, 0.5
	v_cvt_f64_i32_e32 v[33:34], v26
	v_min_f64 v[31:32], v[31:32], s[0:1]
	v_cvt_i32_f32_e32 v11, v11
	v_lshlrev_b16_e32 v16, 4, v38
	v_or_b32_e32 v26, v16, v37
	v_fma_f32 v16, v20, v5, 0.5
	v_cvt_i32_f32_e32 v16, v16
	v_min_f64 v[33:34], v[33:34], s[0:1]
	v_cvt_i32_f64_e32 v13, v[12:13]
	v_cvt_f64_i32_e32 v[11:12], v11
	v_cvt_i32_f64_e32 v15, v[35:36]
	v_cvt_i32_f64_e32 v35, v[29:30]
	v_cvt_f64_i32_e32 v[29:30], v16
	v_fma_f32 v16, v21, v5, 0.5
	v_cvt_i32_f64_e32 v20, v[31:32]
	v_min_f64 v[11:12], v[11:12], s[0:1]
	v_cvt_i32_f32_e32 v16, v16
	v_fma_f32 v10, v10, v5, 0.5
	v_cvt_i32_f32_e32 v10, v10
	v_cvt_i32_f64_e32 v33, v[33:34]
	v_lshlrev_b16_e32 v34, 4, v20
	v_min_f64 v[20:21], v[29:30], s[0:1]
	v_cvt_f64_i32_e32 v[29:30], v16
	v_cvt_f64_i32_e32 v[31:32], v10
	v_cvt_i32_f64_e32 v36, v[11:12]
	v_fma_f32 v16, v17, v5, 0.5
	v_min_f64 v[10:11], v[29:30], s[0:1]
	v_or_b32_e32 v34, v34, v13
	v_min_f64 v[12:13], v[31:32], s[0:1]
	v_cvt_i32_f32_e32 v16, v16
	v_fma_f32 v14, v14, v5, 0.5
	v_cvt_i32_f32_e32 v14, v14
	v_fma_f32 v7, v7, v5, 0.5
	v_cvt_f64_i32_e32 v[16:17], v16
	v_cvt_i32_f32_e32 v7, v7
	v_fma_f32 v6, v6, v5, 0.5
	v_cvt_i32_f64_e32 v30, v[10:11]
	v_cvt_f64_i32_e32 v[10:11], v14
	v_cvt_i32_f32_e32 v14, v6
	v_cvt_i32_f64_e32 v31, v[12:13]
	v_min_f64 v[12:13], v[16:17], s[0:1]
	v_cvt_f64_i32_e32 v[6:7], v7
	v_fma_f32 v16, v3, v5, 0.5
	v_fma_f32 v5, v4, v5, 0.5
	v_cvt_i32_f64_e32 v29, v[20:21]
	v_cvt_f64_i32_e32 v[3:4], v14
	v_cvt_i32_f32_e32 v14, v16
	v_cvt_i32_f32_e32 v20, v5
	v_min_f64 v[5:6], v[6:7], s[0:1]
	v_min_f64 v[10:11], v[10:11], s[0:1]
	v_cvt_f64_i32_e32 v[16:17], v14
	v_cvt_f64_i32_e32 v[20:21], v20
	v_min_f64 v[3:4], v[3:4], s[0:1]
	v_lshlrev_b16_e32 v7, 4, v30
	v_min_f64 v[16:17], v[16:17], s[0:1]
	v_min_f64 v[20:21], v[20:21], s[0:1]
	v_cvt_i32_f64_e32 v5, v[5:6]
	v_cvt_i32_f64_e32 v6, v[10:11]
	;; [unrolled: 1-line block ×3, first 2 shown]
	v_or_b32_e32 v7, v7, v29
	v_cvt_i32_f64_e32 v3, v[3:4]
	v_lshlrev_b16_e32 v4, 4, v5
	v_or_b32_e32 v4, v4, v6
	v_cvt_i32_f64_e32 v5, v[16:17]
	v_cvt_i32_f64_e32 v6, v[20:21]
	v_lshlrev_b16_e32 v10, 8, v10
	v_lshlrev_b16_e32 v3, 12, v3
	v_lshlrev_b16_e32 v5, 8, v5
	v_lshlrev_b16_e32 v6, 12, v6
	v_or_b32_e32 v5, v6, v5
	v_or_b32_sdwa v4, v4, v5 dst_sel:WORD_1 dst_unused:UNUSED_PAD src0_sel:BYTE_0 src1_sel:DWORD
	v_lshlrev_b16_e32 v5, 8, v35
	v_lshlrev_b16_e32 v6, 12, v33
	v_or_b32_e32 v3, v3, v10
	v_or_b32_e32 v5, v6, v5
	v_or_b32_sdwa v3, v7, v3 dst_sel:DWORD dst_unused:UNUSED_PAD src0_sel:BYTE_0 src1_sel:DWORD
	v_or_b32_sdwa v6, v26, v5 dst_sel:DWORD dst_unused:UNUSED_PAD src0_sel:BYTE_0 src1_sel:DWORD
	v_lshlrev_b16_e32 v5, 8, v36
	v_lshlrev_b16_e32 v7, 12, v31
	v_or_b32_e32 v5, v7, v5
	v_or_b32_sdwa v7, v34, v5 dst_sel:WORD_1 dst_unused:UNUSED_PAD src0_sel:BYTE_0 src1_sel:DWORD
	v_or_b32_sdwa v5, v3, v4 dst_sel:DWORD dst_unused:UNUSED_PAD src0_sel:WORD_0 src1_sel:DWORD
	v_or_b32_sdwa v4, v6, v7 dst_sel:DWORD dst_unused:UNUSED_PAD src0_sel:WORD_0 src1_sel:DWORD
	v_lshlrev_b16_e32 v3, 8, v28
	v_lshlrev_b16_e32 v6, 12, v23
	v_lshlrev_b16_e32 v22, 4, v40
	v_or_b32_e32 v3, v6, v3
	v_lshlrev_b16_e32 v6, 8, v24
	v_lshlrev_b16_e32 v7, 12, v15
	v_or_b32_e32 v22, v22, v39
	v_or_b32_e32 v6, v7, v6
	v_or_b32_sdwa v3, v27, v3 dst_sel:DWORD dst_unused:UNUSED_PAD src0_sel:BYTE_0 src1_sel:DWORD
	v_or_b32_sdwa v6, v22, v6 dst_sel:WORD_1 dst_unused:UNUSED_PAD src0_sel:BYTE_0 src1_sel:DWORD
	v_or_b32_sdwa v3, v3, v6 dst_sel:DWORD dst_unused:UNUSED_PAD src0_sel:WORD_0 src1_sel:DWORD
	v_lshlrev_b16_e32 v6, 8, v8
	v_lshlrev_b16_e32 v7, 12, v9
	v_or_b32_e32 v6, v7, v6
	v_or_b32_sdwa v2, v2, v6 dst_sel:DWORD dst_unused:UNUSED_PAD src0_sel:BYTE_0 src1_sel:DWORD
	v_lshlrev_b16_e32 v6, 8, v19
	v_lshlrev_b16_e32 v7, 12, v25
	v_or_b32_e32 v6, v7, v6
	v_or_b32_sdwa v6, v18, v6 dst_sel:WORD_1 dst_unused:UNUSED_PAD src0_sel:BYTE_0 src1_sel:DWORD
	v_or_b32_sdwa v2, v2, v6 dst_sel:DWORD dst_unused:UNUSED_PAD src0_sel:WORD_0 src1_sel:DWORD
	global_store_dwordx4 v[0:1], v[2:5], off offset:4
.LBB13_2:
	s_endpgm
	.section	.rodata,"a",@progbits
	.p2align	6, 0x0
	.amdhsa_kernel _ZL16k_set_rows_quantIi10block_q4_1Li32ETnPFvPKfPT0_EXadL_ZL23quantize_f32_q4_1_blockS2_PS0_EEEvS2_PKT_S4_llllllllllllll15HIP_vector_typeIjLj3EESC_SC_SC_SC_
		.amdhsa_group_segment_fixed_size 0
		.amdhsa_private_segment_fixed_size 0
		.amdhsa_kernarg_size 456
		.amdhsa_user_sgpr_count 6
		.amdhsa_user_sgpr_private_segment_buffer 1
		.amdhsa_user_sgpr_dispatch_ptr 0
		.amdhsa_user_sgpr_queue_ptr 0
		.amdhsa_user_sgpr_kernarg_segment_ptr 1
		.amdhsa_user_sgpr_dispatch_id 0
		.amdhsa_user_sgpr_flat_scratch_init 0
		.amdhsa_user_sgpr_private_segment_size 0
		.amdhsa_uses_dynamic_stack 0
		.amdhsa_system_sgpr_private_segment_wavefront_offset 0
		.amdhsa_system_sgpr_workgroup_id_x 1
		.amdhsa_system_sgpr_workgroup_id_y 0
		.amdhsa_system_sgpr_workgroup_id_z 0
		.amdhsa_system_sgpr_workgroup_info 0
		.amdhsa_system_vgpr_workitem_id 0
		.amdhsa_next_free_vgpr 46
		.amdhsa_next_free_sgpr 40
		.amdhsa_reserve_vcc 1
		.amdhsa_reserve_flat_scratch 0
		.amdhsa_float_round_mode_32 0
		.amdhsa_float_round_mode_16_64 0
		.amdhsa_float_denorm_mode_32 3
		.amdhsa_float_denorm_mode_16_64 3
		.amdhsa_dx10_clamp 1
		.amdhsa_ieee_mode 1
		.amdhsa_fp16_overflow 0
		.amdhsa_exception_fp_ieee_invalid_op 0
		.amdhsa_exception_fp_denorm_src 0
		.amdhsa_exception_fp_ieee_div_zero 0
		.amdhsa_exception_fp_ieee_overflow 0
		.amdhsa_exception_fp_ieee_underflow 0
		.amdhsa_exception_fp_ieee_inexact 0
		.amdhsa_exception_int_div_zero 0
	.end_amdhsa_kernel
	.section	.text._ZL16k_set_rows_quantIi10block_q4_1Li32ETnPFvPKfPT0_EXadL_ZL23quantize_f32_q4_1_blockS2_PS0_EEEvS2_PKT_S4_llllllllllllll15HIP_vector_typeIjLj3EESC_SC_SC_SC_,"axG",@progbits,_ZL16k_set_rows_quantIi10block_q4_1Li32ETnPFvPKfPT0_EXadL_ZL23quantize_f32_q4_1_blockS2_PS0_EEEvS2_PKT_S4_llllllllllllll15HIP_vector_typeIjLj3EESC_SC_SC_SC_,comdat
.Lfunc_end13:
	.size	_ZL16k_set_rows_quantIi10block_q4_1Li32ETnPFvPKfPT0_EXadL_ZL23quantize_f32_q4_1_blockS2_PS0_EEEvS2_PKT_S4_llllllllllllll15HIP_vector_typeIjLj3EESC_SC_SC_SC_, .Lfunc_end13-_ZL16k_set_rows_quantIi10block_q4_1Li32ETnPFvPKfPT0_EXadL_ZL23quantize_f32_q4_1_blockS2_PS0_EEEvS2_PKT_S4_llllllllllllll15HIP_vector_typeIjLj3EESC_SC_SC_SC_
                                        ; -- End function
	.set _ZL16k_set_rows_quantIi10block_q4_1Li32ETnPFvPKfPT0_EXadL_ZL23quantize_f32_q4_1_blockS2_PS0_EEEvS2_PKT_S4_llllllllllllll15HIP_vector_typeIjLj3EESC_SC_SC_SC_.num_vgpr, 46
	.set _ZL16k_set_rows_quantIi10block_q4_1Li32ETnPFvPKfPT0_EXadL_ZL23quantize_f32_q4_1_blockS2_PS0_EEEvS2_PKT_S4_llllllllllllll15HIP_vector_typeIjLj3EESC_SC_SC_SC_.num_agpr, 0
	.set _ZL16k_set_rows_quantIi10block_q4_1Li32ETnPFvPKfPT0_EXadL_ZL23quantize_f32_q4_1_blockS2_PS0_EEEvS2_PKT_S4_llllllllllllll15HIP_vector_typeIjLj3EESC_SC_SC_SC_.numbered_sgpr, 40
	.set _ZL16k_set_rows_quantIi10block_q4_1Li32ETnPFvPKfPT0_EXadL_ZL23quantize_f32_q4_1_blockS2_PS0_EEEvS2_PKT_S4_llllllllllllll15HIP_vector_typeIjLj3EESC_SC_SC_SC_.num_named_barrier, 0
	.set _ZL16k_set_rows_quantIi10block_q4_1Li32ETnPFvPKfPT0_EXadL_ZL23quantize_f32_q4_1_blockS2_PS0_EEEvS2_PKT_S4_llllllllllllll15HIP_vector_typeIjLj3EESC_SC_SC_SC_.private_seg_size, 0
	.set _ZL16k_set_rows_quantIi10block_q4_1Li32ETnPFvPKfPT0_EXadL_ZL23quantize_f32_q4_1_blockS2_PS0_EEEvS2_PKT_S4_llllllllllllll15HIP_vector_typeIjLj3EESC_SC_SC_SC_.uses_vcc, 1
	.set _ZL16k_set_rows_quantIi10block_q4_1Li32ETnPFvPKfPT0_EXadL_ZL23quantize_f32_q4_1_blockS2_PS0_EEEvS2_PKT_S4_llllllllllllll15HIP_vector_typeIjLj3EESC_SC_SC_SC_.uses_flat_scratch, 0
	.set _ZL16k_set_rows_quantIi10block_q4_1Li32ETnPFvPKfPT0_EXadL_ZL23quantize_f32_q4_1_blockS2_PS0_EEEvS2_PKT_S4_llllllllllllll15HIP_vector_typeIjLj3EESC_SC_SC_SC_.has_dyn_sized_stack, 0
	.set _ZL16k_set_rows_quantIi10block_q4_1Li32ETnPFvPKfPT0_EXadL_ZL23quantize_f32_q4_1_blockS2_PS0_EEEvS2_PKT_S4_llllllllllllll15HIP_vector_typeIjLj3EESC_SC_SC_SC_.has_recursion, 0
	.set _ZL16k_set_rows_quantIi10block_q4_1Li32ETnPFvPKfPT0_EXadL_ZL23quantize_f32_q4_1_blockS2_PS0_EEEvS2_PKT_S4_llllllllllllll15HIP_vector_typeIjLj3EESC_SC_SC_SC_.has_indirect_call, 0
	.section	.AMDGPU.csdata,"",@progbits
; Kernel info:
; codeLenInByte = 2832
; TotalNumSgprs: 44
; NumVgprs: 46
; ScratchSize: 0
; MemoryBound: 0
; FloatMode: 240
; IeeeMode: 1
; LDSByteSize: 0 bytes/workgroup (compile time only)
; SGPRBlocks: 5
; VGPRBlocks: 11
; NumSGPRsForWavesPerEU: 44
; NumVGPRsForWavesPerEU: 46
; Occupancy: 5
; WaveLimiterHint : 1
; COMPUTE_PGM_RSRC2:SCRATCH_EN: 0
; COMPUTE_PGM_RSRC2:USER_SGPR: 6
; COMPUTE_PGM_RSRC2:TRAP_HANDLER: 0
; COMPUTE_PGM_RSRC2:TGID_X_EN: 1
; COMPUTE_PGM_RSRC2:TGID_Y_EN: 0
; COMPUTE_PGM_RSRC2:TGID_Z_EN: 0
; COMPUTE_PGM_RSRC2:TIDIG_COMP_CNT: 0
	.section	.text._ZL16k_set_rows_quantIi10block_q5_0Li32ETnPFvPKfPT0_EXadL_ZL23quantize_f32_q5_0_blockS2_PS0_EEEvS2_PKT_S4_llllllllllllll15HIP_vector_typeIjLj3EESC_SC_SC_SC_,"axG",@progbits,_ZL16k_set_rows_quantIi10block_q5_0Li32ETnPFvPKfPT0_EXadL_ZL23quantize_f32_q5_0_blockS2_PS0_EEEvS2_PKT_S4_llllllllllllll15HIP_vector_typeIjLj3EESC_SC_SC_SC_,comdat
	.globl	_ZL16k_set_rows_quantIi10block_q5_0Li32ETnPFvPKfPT0_EXadL_ZL23quantize_f32_q5_0_blockS2_PS0_EEEvS2_PKT_S4_llllllllllllll15HIP_vector_typeIjLj3EESC_SC_SC_SC_ ; -- Begin function _ZL16k_set_rows_quantIi10block_q5_0Li32ETnPFvPKfPT0_EXadL_ZL23quantize_f32_q5_0_blockS2_PS0_EEEvS2_PKT_S4_llllllllllllll15HIP_vector_typeIjLj3EESC_SC_SC_SC_
	.p2align	8
	.type	_ZL16k_set_rows_quantIi10block_q5_0Li32ETnPFvPKfPT0_EXadL_ZL23quantize_f32_q5_0_blockS2_PS0_EEEvS2_PKT_S4_llllllllllllll15HIP_vector_typeIjLj3EESC_SC_SC_SC_,@function
_ZL16k_set_rows_quantIi10block_q5_0Li32ETnPFvPKfPT0_EXadL_ZL23quantize_f32_q5_0_blockS2_PS0_EEEvS2_PKT_S4_llllllllllllll15HIP_vector_typeIjLj3EESC_SC_SC_SC_: ; @_ZL16k_set_rows_quantIi10block_q5_0Li32ETnPFvPKfPT0_EXadL_ZL23quantize_f32_q5_0_blockS2_PS0_EEEvS2_PKT_S4_llllllllllllll15HIP_vector_typeIjLj3EESC_SC_SC_SC_
; %bb.0:
	s_load_dword s2, s[4:5], 0xd4
	s_load_dwordx2 s[0:1], s[4:5], 0x18
	v_mov_b32_e32 v1, 0
	v_mov_b32_e32 v2, s6
	s_waitcnt lgkmcnt(0)
	s_and_b32 s2, s2, 0xffff
	v_mad_u64_u32 v[2:3], s[2:3], s2, v2, v[0:1]
	v_cmp_gt_i64_e32 vcc, s[0:1], v[2:3]
	s_and_saveexec_b64 s[0:1], vcc
	s_cbranch_execz .LBB14_4
; %bb.1:
	s_load_dwordx8 s[24:31], s[4:5], 0x88
	v_lshlrev_b32_e32 v5, 5, v2
	s_load_dwordx4 s[36:39], s[4:5], 0x0
	s_load_dwordx2 s[6:7], s[4:5], 0x10
	s_load_dwordx16 s[8:23], s[4:5], 0x40
	s_load_dwordx4 s[0:3], s[4:5], 0xa8
	s_waitcnt lgkmcnt(0)
	v_mul_hi_u32 v0, s24, v5
	v_mov_b32_e32 v10, s37
	v_add_u32_e32 v0, v5, v0
	v_lshrrev_b32_e32 v0, s25, v0
	v_mul_hi_u32 v2, v0, s27
	v_mul_lo_u32 v8, v0, s26
	v_add_u32_e32 v2, v0, v2
	v_lshrrev_b32_e32 v4, s28, v2
	v_mul_lo_u32 v2, v4, s29
	v_mul_hi_u32 v3, v4, s30
	v_sub_u32_e32 v14, v0, v2
	v_add_u32_e32 v2, v4, v3
	v_lshrrev_b32_e32 v12, s31, v2
	v_mad_u64_u32 v[2:3], s[24:25], s8, v14, 0
	v_mul_lo_u32 v6, v12, s0
	v_mov_b32_e32 v0, v3
	v_sub_u32_e32 v13, v4, v6
	v_mad_u64_u32 v[3:4], s[8:9], s9, v14, v[0:1]
	v_mad_u64_u32 v[6:7], s[8:9], s10, v13, 0
	v_sub_u32_e32 v0, v5, v8
	v_lshlrev_b64 v[4:5], 2, v[2:3]
	v_mov_b32_e32 v2, v7
	v_mad_u64_u32 v[2:3], s[8:9], s11, v13, v[2:3]
	v_mad_u64_u32 v[8:9], s[8:9], s12, v12, 0
	v_mov_b32_e32 v7, v2
	v_add_co_u32_e32 v11, vcc, s36, v4
	v_mov_b32_e32 v2, v9
	v_mad_u64_u32 v[2:3], s[8:9], s13, v12, v[2:3]
	v_lshlrev_b64 v[6:7], 2, v[6:7]
	v_addc_co_u32_e32 v10, vcc, v10, v5, vcc
	v_mov_b32_e32 v9, v2
	v_add_co_u32_e32 v3, vcc, v11, v6
	v_lshlrev_b64 v[8:9], 2, v[8:9]
	v_addc_co_u32_e32 v10, vcc, v10, v7, vcc
	v_add_co_u32_e32 v2, vcc, v3, v8
	v_addc_co_u32_e32 v3, vcc, v10, v9, vcc
	v_lshlrev_b64 v[10:11], 2, v[0:1]
	v_lshrrev_b32_e32 v0, 5, v0
	v_add_co_u32_e32 v2, vcc, v2, v10
	v_addc_co_u32_e32 v3, vcc, v3, v11, vcc
	global_load_dwordx4 v[15:18], v[2:3], off
	v_mul_lo_u32 v0, v0, 22
	s_waitcnt vmcnt(0)
	v_cmp_lg_f32_e32 vcc, 0, v15
	v_cndmask_b32_e32 v19, 0, v15, vcc
	v_cndmask_b32_e64 v15, 0, |v15|, vcc
	v_cmp_lt_f32_e64 vcc, v15, |v16|
	v_cndmask_b32_e64 v15, v15, |v16|, vcc
	v_cndmask_b32_e32 v19, v19, v16, vcc
	v_cmp_lt_f32_e64 vcc, v15, |v17|
	v_cndmask_b32_e64 v15, v15, |v17|, vcc
	v_cndmask_b32_e32 v16, v19, v17, vcc
	v_cmp_lt_f32_e64 vcc, v15, |v18|
	v_cndmask_b32_e32 v19, v16, v18, vcc
	v_cndmask_b32_e64 v20, v15, |v18|, vcc
	global_load_dwordx4 v[15:18], v[2:3], off offset:16
	s_waitcnt vmcnt(0)
	v_cmp_lt_f32_e64 vcc, v20, |v15|
	v_cndmask_b32_e32 v19, v19, v15, vcc
	v_cndmask_b32_e64 v15, v20, |v15|, vcc
	v_cmp_lt_f32_e64 vcc, v15, |v16|
	v_cndmask_b32_e64 v15, v15, |v16|, vcc
	v_cndmask_b32_e32 v19, v19, v16, vcc
	v_cmp_lt_f32_e64 vcc, v15, |v17|
	v_cndmask_b32_e64 v15, v15, |v17|, vcc
	v_cndmask_b32_e32 v16, v19, v17, vcc
	v_cmp_lt_f32_e64 vcc, v15, |v18|
	v_cndmask_b32_e32 v19, v16, v18, vcc
	v_cndmask_b32_e64 v20, v15, |v18|, vcc
	global_load_dwordx4 v[15:18], v[2:3], off offset:32
	s_waitcnt vmcnt(0)
	v_cmp_lt_f32_e64 vcc, v20, |v15|
	v_cndmask_b32_e32 v19, v19, v15, vcc
	v_cndmask_b32_e64 v15, v20, |v15|, vcc
	v_cmp_lt_f32_e64 vcc, v15, |v16|
	v_cndmask_b32_e64 v15, v15, |v16|, vcc
	v_cndmask_b32_e32 v19, v19, v16, vcc
	v_cmp_lt_f32_e64 vcc, v15, |v17|
	v_cndmask_b32_e64 v15, v15, |v17|, vcc
	v_cndmask_b32_e32 v16, v19, v17, vcc
	v_cmp_lt_f32_e64 vcc, v15, |v18|
	v_cndmask_b32_e32 v19, v16, v18, vcc
	v_cndmask_b32_e64 v20, v15, |v18|, vcc
	global_load_dwordx4 v[15:18], v[2:3], off offset:48
	s_waitcnt vmcnt(0)
	v_cmp_lt_f32_e64 vcc, v20, |v15|
	v_cndmask_b32_e32 v19, v19, v15, vcc
	v_cndmask_b32_e64 v15, v20, |v15|, vcc
	v_cmp_lt_f32_e64 vcc, v15, |v16|
	v_cndmask_b32_e64 v15, v15, |v16|, vcc
	v_cndmask_b32_e32 v19, v19, v16, vcc
	v_cmp_lt_f32_e64 vcc, v15, |v17|
	v_cndmask_b32_e64 v15, v15, |v17|, vcc
	v_cndmask_b32_e32 v16, v19, v17, vcc
	v_cmp_lt_f32_e64 vcc, v15, |v18|
	v_cndmask_b32_e32 v19, v16, v18, vcc
	v_cndmask_b32_e64 v20, v15, |v18|, vcc
	global_load_dwordx4 v[15:18], v[2:3], off offset:64
	s_waitcnt vmcnt(0)
	v_cmp_lt_f32_e64 vcc, v20, |v15|
	v_cndmask_b32_e32 v19, v19, v15, vcc
	v_cndmask_b32_e64 v15, v20, |v15|, vcc
	v_cmp_lt_f32_e64 vcc, v15, |v16|
	v_cndmask_b32_e64 v15, v15, |v16|, vcc
	v_cndmask_b32_e32 v19, v19, v16, vcc
	v_cmp_lt_f32_e64 vcc, v15, |v17|
	v_cndmask_b32_e64 v15, v15, |v17|, vcc
	v_cndmask_b32_e32 v16, v19, v17, vcc
	v_cmp_lt_f32_e64 vcc, v15, |v18|
	v_cndmask_b32_e32 v19, v16, v18, vcc
	v_cndmask_b32_e64 v20, v15, |v18|, vcc
	global_load_dwordx4 v[15:18], v[2:3], off offset:80
	s_waitcnt vmcnt(0)
	v_cmp_lt_f32_e64 vcc, v20, |v15|
	v_cndmask_b32_e32 v19, v19, v15, vcc
	v_cndmask_b32_e64 v15, v20, |v15|, vcc
	v_cmp_lt_f32_e64 vcc, v15, |v16|
	v_cndmask_b32_e64 v15, v15, |v16|, vcc
	v_cndmask_b32_e32 v19, v19, v16, vcc
	v_cmp_lt_f32_e64 vcc, v15, |v17|
	v_cndmask_b32_e64 v15, v15, |v17|, vcc
	v_cndmask_b32_e32 v16, v19, v17, vcc
	v_cmp_lt_f32_e64 vcc, v15, |v18|
	v_cndmask_b32_e32 v19, v16, v18, vcc
	v_cndmask_b32_e64 v20, v15, |v18|, vcc
	global_load_dwordx4 v[15:18], v[2:3], off offset:96
	s_waitcnt vmcnt(0)
	v_cmp_lt_f32_e64 vcc, v20, |v15|
	v_cndmask_b32_e32 v19, v19, v15, vcc
	v_cndmask_b32_e64 v15, v20, |v15|, vcc
	v_cmp_lt_f32_e64 vcc, v15, |v16|
	v_cndmask_b32_e64 v15, v15, |v16|, vcc
	v_cndmask_b32_e32 v19, v19, v16, vcc
	v_cmp_lt_f32_e64 vcc, v15, |v17|
	v_cndmask_b32_e64 v15, v15, |v17|, vcc
	v_cndmask_b32_e32 v16, v19, v17, vcc
	v_cmp_lt_f32_e64 vcc, v15, |v18|
	v_cndmask_b32_e32 v20, v16, v18, vcc
	v_cndmask_b32_e64 v21, v15, |v18|, vcc
	v_mad_u64_u32 v[15:16], s[8:9], s14, v14, 0
	v_mad_u64_u32 v[16:17], s[8:9], s15, v14, v[16:17]
	v_mov_b32_e32 v17, s39
	v_lshlrev_b64 v[14:15], 2, v[15:16]
	v_add_co_u32_e32 v18, vcc, s38, v14
	v_mul_hi_u32 v14, v13, s1
	v_addc_co_u32_e32 v17, vcc, v17, v15, vcc
	v_add_u32_e32 v14, v13, v14
	v_lshrrev_b32_e32 v14, s2, v14
	v_mul_lo_u32 v14, v14, s3
	v_sub_u32_e32 v16, v13, v14
	v_mad_u64_u32 v[14:15], s[0:1], s16, v16, 0
	v_mad_u64_u32 v[15:16], s[0:1], s17, v16, v[15:16]
	s_load_dwordx2 s[0:1], s[4:5], 0xb8
	v_lshlrev_b64 v[14:15], 2, v[14:15]
	v_add_co_u32_e32 v18, vcc, v18, v14
	s_waitcnt lgkmcnt(0)
	v_mul_hi_u32 v14, v12, s0
	s_load_dword s0, s[4:5], 0xc0
	v_addc_co_u32_e32 v17, vcc, v17, v15, vcc
	v_add_u32_e32 v14, v12, v14
	v_lshrrev_b32_e32 v14, s1, v14
	s_waitcnt lgkmcnt(0)
	v_mul_lo_u32 v14, v14, s0
	v_sub_u32_e32 v16, v12, v14
	v_mad_u64_u32 v[14:15], s[0:1], s18, v16, 0
	v_mad_u64_u32 v[15:16], s[0:1], s19, v16, v[15:16]
	v_lshlrev_b64 v[14:15], 2, v[14:15]
	v_add_co_u32_e32 v14, vcc, v18, v14
	v_addc_co_u32_e32 v15, vcc, v17, v15, vcc
	global_load_dword v14, v[14:15], off
	s_waitcnt vmcnt(0)
	v_ashrrev_i32_e32 v15, 31, v14
	v_mul_lo_u32 v16, s20, v15
	v_mul_lo_u32 v17, s21, v14
	v_mad_u64_u32 v[14:15], s[0:1], s20, v14, 0
	s_load_dwordx2 s[0:1], s[4:5], 0x80
	s_mov_b32 s4, 0x2e8ba2e8
	v_add3_u32 v15, v15, v16, v17
	s_waitcnt lgkmcnt(0)
	v_mad_u64_u32 v[18:19], s[2:3], s0, v12, v[14:15]
	v_mov_b32_e32 v14, v19
	v_mad_u64_u32 v[14:15], s[0:1], s1, v12, v[14:15]
	v_mov_b32_e32 v19, v14
	global_load_dwordx4 v[14:17], v[2:3], off offset:112
	s_waitcnt vmcnt(0)
	v_cmp_lt_f32_e64 vcc, v21, |v14|
	v_cndmask_b32_e32 v12, v20, v14, vcc
	v_cndmask_b32_e64 v14, v21, |v14|, vcc
	v_cmp_lt_f32_e64 vcc, v14, |v15|
	v_cndmask_b32_e64 v14, v14, |v15|, vcc
	v_cndmask_b32_e32 v12, v12, v15, vcc
	v_cmp_lt_f32_e64 vcc, v14, |v16|
	v_cndmask_b32_e64 v14, v14, |v16|, vcc
	v_cndmask_b32_e32 v12, v12, v16, vcc
	v_cmp_lt_f32_e64 vcc, v14, |v17|
	v_mad_u64_u32 v[14:15], s[0:1], s22, v13, v[18:19]
	v_cndmask_b32_e32 v19, v12, v17, vcc
	v_mov_b32_e32 v16, v1
	v_mov_b32_e32 v12, v15
	v_mad_u64_u32 v[12:13], s[0:1], s23, v13, v[12:13]
	s_mov_b32 s0, 0xba2e8ba3
	v_mul_hi_u32 v15, v14, s0
	v_mov_b32_e32 v18, v1
	v_mad_u64_u32 v[15:16], s[0:1], v12, s0, v[15:16]
	v_mov_b32_e32 v17, v15
	v_mad_u64_u32 v[13:14], s[0:1], v14, s4, v[17:18]
	v_add_co_u32_e32 v13, vcc, v16, v14
	v_mul_f32_e32 v16, 0xbd800000, v19
	v_div_scale_f32 v15, s[0:1], v16, v16, 1.0
	v_div_scale_f32 v17, s[0:1], 1.0, v16, 1.0
	v_addc_co_u32_e64 v14, s[2:3], 0, 0, vcc
	v_mad_u64_u32 v[12:13], s[2:3], v12, s4, v[13:14]
	s_mov_b64 vcc, s[0:1]
	s_mov_b32 s4, 0
	s_mov_b32 s5, 0x403f0000
	v_rcp_f32_e32 v14, v15
	v_fma_f32 v18, -v15, v14, 1.0
	v_fmac_f32_e32 v14, v18, v14
	v_mul_f32_e32 v18, v17, v14
	v_fma_f32 v20, -v15, v18, v17
	v_fmac_f32_e32 v18, v20, v14
	v_fma_f32 v15, -v15, v18, v17
	v_div_fmas_f32 v17, v15, v14, v18
	v_alignbit_b32 v18, v13, v12, 2
	v_lshrrev_b32_e32 v12, 2, v13
	v_mad_u64_u32 v[14:15], s[0:1], v18, 22, s[6:7]
	v_mul_lo_u32 v20, v12, 22
	s_mov_b32 s0, 0xbd800000
	v_add_co_u32_e32 v12, vcc, v14, v0
	v_add_u32_e32 v13, v20, v15
	v_mad_u64_u32 v[14:15], s[2:3], v18, 22, v[0:1]
	v_addc_co_u32_e32 v13, vcc, 0, v13, vcc
	v_cmp_neq_f32_e32 vcc, 0, v16
	v_add_u32_e32 v15, v20, v15
	v_div_fixup_f32 v17, v17, v16, 1.0
	v_fma_mixlo_f16 v16, v19, s0, 0
	v_cndmask_b32_e32 v0, 0, v17, vcc
	global_store_short v[12:13], v16, off
	v_mov_b32_e32 v16, s7
	v_add_co_u32_e32 v14, vcc, s6, v14
	v_addc_co_u32_e32 v15, vcc, v16, v15, vcc
	v_add_co_u32_e32 v6, vcc, v8, v6
	v_addc_co_u32_e32 v7, vcc, v9, v7, vcc
	;; [unrolled: 2-line block ×4, first 2 shown]
	v_mov_b32_e32 v6, s37
	v_add_co_u32_e32 v4, vcc, s36, v4
	v_addc_co_u32_e32 v5, vcc, v6, v5, vcc
	v_add_co_u32_e32 v4, vcc, 64, v4
	s_mov_b32 s1, 0
	v_addc_co_u32_e32 v5, vcc, 0, v5, vcc
	s_mov_b64 s[2:3], 0
	v_mov_b32_e32 v6, 0x41840000
	v_mov_b32_e32 v7, 15
	;; [unrolled: 1-line block ×4, first 2 shown]
.LBB14_2:                               ; =>This Inner Loop Header: Depth=1
	s_or_b32 s0, s2, 17
	global_load_dwordx2 v[10:11], v[4:5], off offset:-64
	global_load_dword v18, v[4:5], off
	s_lshl_b64 s[6:7], s[0:1], 2
	v_mov_b32_e32 v17, s7
	v_add_co_u32_e32 v16, vcc, s6, v2
	v_addc_co_u32_e32 v17, vcc, v3, v17, vcc
	global_load_dword v19, v[16:17], off
	v_and_b32_e32 v9, 0xff0000, v9
	v_and_b32_e32 v1, 0xffff, v1
	v_or3_b32 v1, v9, v8, v1
	s_add_i32 s6, s2, 16
	v_add_co_u32_e32 v4, vcc, 8, v4
	s_add_i32 s7, s2, 1
	v_addc_co_u32_e32 v5, vcc, 0, v5, vcc
	v_mov_b32_e32 v17, s3
	v_add_co_u32_e32 v16, vcc, s2, v14
	v_addc_co_u32_e32 v17, vcc, v15, v17, vcc
	s_waitcnt vmcnt(2)
	v_fma_f32 v8, v0, v10, v6
	s_waitcnt vmcnt(1)
	v_fma_f32 v9, v0, v18, v6
	v_fma_f32 v10, v0, v11, v6
	v_cvt_i32_f32_e32 v8, v8
	v_cvt_i32_f32_e32 v11, v9
	v_cvt_i32_f32_e32 v18, v10
	v_cvt_f64_i32_e32 v[8:9], v8
	s_waitcnt vmcnt(0)
	v_fma_f32 v20, v0, v19, v6
	v_cvt_i32_f32_e32 v20, v20
	v_cvt_f64_i32_e32 v[10:11], v11
	v_cvt_f64_i32_e32 v[18:19], v18
	v_min_f64 v[8:9], v[8:9], s[4:5]
	v_cvt_f64_i32_e32 v[20:21], v20
	v_min_f64 v[10:11], v[10:11], s[4:5]
	v_min_f64 v[18:19], v[18:19], s[4:5]
	;; [unrolled: 1-line block ×3, first 2 shown]
	v_cvt_i32_f64_e32 v8, v[8:9]
	v_cvt_i32_f64_e32 v9, v[10:11]
	;; [unrolled: 1-line block ×3, first 2 shown]
	v_and_b32_e32 v11, 15, v8
	v_cvt_i32_f64_e32 v19, v[20:21]
	v_lshlrev_b16_e32 v18, 4, v9
	v_lshrrev_b16_e32 v8, 4, v8
	v_lshrrev_b16_e32 v9, 4, v9
	v_and_b32_e32 v8, 1, v8
	v_and_b32_e32 v9, 1, v9
	v_and_b32_sdwa v20, v10, v7 dst_sel:BYTE_1 dst_unused:UNUSED_PAD src0_sel:DWORD src1_sel:DWORD
	v_lshrrev_b16_e32 v10, 4, v10
	v_lshlrev_b32_sdwa v8, s2, v8 dst_sel:DWORD dst_unused:UNUSED_PAD src0_sel:DWORD src1_sel:WORD_0
	v_lshlrev_b32_sdwa v9, s6, v9 dst_sel:DWORD dst_unused:UNUSED_PAD src0_sel:DWORD src1_sel:WORD_0
	v_and_b32_e32 v10, 1, v10
	v_or3_b32 v1, v8, v1, v9
	v_lshrrev_b16_e32 v9, 4, v19
	v_and_b32_e32 v10, 0xffff, v10
	v_lshlrev_b16_e32 v8, 12, v19
	v_and_b32_e32 v9, 1, v9
	v_or_b32_e32 v11, v18, v11
	s_add_u32 s2, s2, 2
	v_lshl_or_b32 v1, v10, s7, v1
	v_or_b32_e32 v8, v8, v20
	v_and_b32_e32 v9, 0xffff, v9
	s_addc_u32 s3, s3, 0
	v_or_b32_sdwa v8, v11, v8 dst_sel:DWORD dst_unused:UNUSED_PAD src0_sel:BYTE_0 src1_sel:DWORD
	v_lshl_or_b32 v9, v9, s0, v1
	s_cmp_lg_u32 s2, 16
	global_store_short v[16:17], v8, off offset:6
	v_and_b32_e32 v8, 0xff000000, v9
	s_cbranch_scc1 .LBB14_2
; %bb.3:
	s_mov_b32 s0, 0xffff
	v_bfi_b32 v0, s0, v1, v9
	global_store_dword v[12:13], v0, off offset:2
.LBB14_4:
	s_endpgm
	.section	.rodata,"a",@progbits
	.p2align	6, 0x0
	.amdhsa_kernel _ZL16k_set_rows_quantIi10block_q5_0Li32ETnPFvPKfPT0_EXadL_ZL23quantize_f32_q5_0_blockS2_PS0_EEEvS2_PKT_S4_llllllllllllll15HIP_vector_typeIjLj3EESC_SC_SC_SC_
		.amdhsa_group_segment_fixed_size 0
		.amdhsa_private_segment_fixed_size 0
		.amdhsa_kernarg_size 456
		.amdhsa_user_sgpr_count 6
		.amdhsa_user_sgpr_private_segment_buffer 1
		.amdhsa_user_sgpr_dispatch_ptr 0
		.amdhsa_user_sgpr_queue_ptr 0
		.amdhsa_user_sgpr_kernarg_segment_ptr 1
		.amdhsa_user_sgpr_dispatch_id 0
		.amdhsa_user_sgpr_flat_scratch_init 0
		.amdhsa_user_sgpr_private_segment_size 0
		.amdhsa_uses_dynamic_stack 0
		.amdhsa_system_sgpr_private_segment_wavefront_offset 0
		.amdhsa_system_sgpr_workgroup_id_x 1
		.amdhsa_system_sgpr_workgroup_id_y 0
		.amdhsa_system_sgpr_workgroup_id_z 0
		.amdhsa_system_sgpr_workgroup_info 0
		.amdhsa_system_vgpr_workitem_id 0
		.amdhsa_next_free_vgpr 22
		.amdhsa_next_free_sgpr 40
		.amdhsa_reserve_vcc 1
		.amdhsa_reserve_flat_scratch 0
		.amdhsa_float_round_mode_32 0
		.amdhsa_float_round_mode_16_64 0
		.amdhsa_float_denorm_mode_32 3
		.amdhsa_float_denorm_mode_16_64 3
		.amdhsa_dx10_clamp 1
		.amdhsa_ieee_mode 1
		.amdhsa_fp16_overflow 0
		.amdhsa_exception_fp_ieee_invalid_op 0
		.amdhsa_exception_fp_denorm_src 0
		.amdhsa_exception_fp_ieee_div_zero 0
		.amdhsa_exception_fp_ieee_overflow 0
		.amdhsa_exception_fp_ieee_underflow 0
		.amdhsa_exception_fp_ieee_inexact 0
		.amdhsa_exception_int_div_zero 0
	.end_amdhsa_kernel
	.section	.text._ZL16k_set_rows_quantIi10block_q5_0Li32ETnPFvPKfPT0_EXadL_ZL23quantize_f32_q5_0_blockS2_PS0_EEEvS2_PKT_S4_llllllllllllll15HIP_vector_typeIjLj3EESC_SC_SC_SC_,"axG",@progbits,_ZL16k_set_rows_quantIi10block_q5_0Li32ETnPFvPKfPT0_EXadL_ZL23quantize_f32_q5_0_blockS2_PS0_EEEvS2_PKT_S4_llllllllllllll15HIP_vector_typeIjLj3EESC_SC_SC_SC_,comdat
.Lfunc_end14:
	.size	_ZL16k_set_rows_quantIi10block_q5_0Li32ETnPFvPKfPT0_EXadL_ZL23quantize_f32_q5_0_blockS2_PS0_EEEvS2_PKT_S4_llllllllllllll15HIP_vector_typeIjLj3EESC_SC_SC_SC_, .Lfunc_end14-_ZL16k_set_rows_quantIi10block_q5_0Li32ETnPFvPKfPT0_EXadL_ZL23quantize_f32_q5_0_blockS2_PS0_EEEvS2_PKT_S4_llllllllllllll15HIP_vector_typeIjLj3EESC_SC_SC_SC_
                                        ; -- End function
	.set _ZL16k_set_rows_quantIi10block_q5_0Li32ETnPFvPKfPT0_EXadL_ZL23quantize_f32_q5_0_blockS2_PS0_EEEvS2_PKT_S4_llllllllllllll15HIP_vector_typeIjLj3EESC_SC_SC_SC_.num_vgpr, 22
	.set _ZL16k_set_rows_quantIi10block_q5_0Li32ETnPFvPKfPT0_EXadL_ZL23quantize_f32_q5_0_blockS2_PS0_EEEvS2_PKT_S4_llllllllllllll15HIP_vector_typeIjLj3EESC_SC_SC_SC_.num_agpr, 0
	.set _ZL16k_set_rows_quantIi10block_q5_0Li32ETnPFvPKfPT0_EXadL_ZL23quantize_f32_q5_0_blockS2_PS0_EEEvS2_PKT_S4_llllllllllllll15HIP_vector_typeIjLj3EESC_SC_SC_SC_.numbered_sgpr, 40
	.set _ZL16k_set_rows_quantIi10block_q5_0Li32ETnPFvPKfPT0_EXadL_ZL23quantize_f32_q5_0_blockS2_PS0_EEEvS2_PKT_S4_llllllllllllll15HIP_vector_typeIjLj3EESC_SC_SC_SC_.num_named_barrier, 0
	.set _ZL16k_set_rows_quantIi10block_q5_0Li32ETnPFvPKfPT0_EXadL_ZL23quantize_f32_q5_0_blockS2_PS0_EEEvS2_PKT_S4_llllllllllllll15HIP_vector_typeIjLj3EESC_SC_SC_SC_.private_seg_size, 0
	.set _ZL16k_set_rows_quantIi10block_q5_0Li32ETnPFvPKfPT0_EXadL_ZL23quantize_f32_q5_0_blockS2_PS0_EEEvS2_PKT_S4_llllllllllllll15HIP_vector_typeIjLj3EESC_SC_SC_SC_.uses_vcc, 1
	.set _ZL16k_set_rows_quantIi10block_q5_0Li32ETnPFvPKfPT0_EXadL_ZL23quantize_f32_q5_0_blockS2_PS0_EEEvS2_PKT_S4_llllllllllllll15HIP_vector_typeIjLj3EESC_SC_SC_SC_.uses_flat_scratch, 0
	.set _ZL16k_set_rows_quantIi10block_q5_0Li32ETnPFvPKfPT0_EXadL_ZL23quantize_f32_q5_0_blockS2_PS0_EEEvS2_PKT_S4_llllllllllllll15HIP_vector_typeIjLj3EESC_SC_SC_SC_.has_dyn_sized_stack, 0
	.set _ZL16k_set_rows_quantIi10block_q5_0Li32ETnPFvPKfPT0_EXadL_ZL23quantize_f32_q5_0_blockS2_PS0_EEEvS2_PKT_S4_llllllllllllll15HIP_vector_typeIjLj3EESC_SC_SC_SC_.has_recursion, 0
	.set _ZL16k_set_rows_quantIi10block_q5_0Li32ETnPFvPKfPT0_EXadL_ZL23quantize_f32_q5_0_blockS2_PS0_EEEvS2_PKT_S4_llllllllllllll15HIP_vector_typeIjLj3EESC_SC_SC_SC_.has_indirect_call, 0
	.section	.AMDGPU.csdata,"",@progbits
; Kernel info:
; codeLenInByte = 2084
; TotalNumSgprs: 44
; NumVgprs: 22
; ScratchSize: 0
; MemoryBound: 0
; FloatMode: 240
; IeeeMode: 1
; LDSByteSize: 0 bytes/workgroup (compile time only)
; SGPRBlocks: 5
; VGPRBlocks: 5
; NumSGPRsForWavesPerEU: 44
; NumVGPRsForWavesPerEU: 22
; Occupancy: 10
; WaveLimiterHint : 1
; COMPUTE_PGM_RSRC2:SCRATCH_EN: 0
; COMPUTE_PGM_RSRC2:USER_SGPR: 6
; COMPUTE_PGM_RSRC2:TRAP_HANDLER: 0
; COMPUTE_PGM_RSRC2:TGID_X_EN: 1
; COMPUTE_PGM_RSRC2:TGID_Y_EN: 0
; COMPUTE_PGM_RSRC2:TGID_Z_EN: 0
; COMPUTE_PGM_RSRC2:TIDIG_COMP_CNT: 0
	.section	.text._ZL16k_set_rows_quantIi10block_q5_1Li32ETnPFvPKfPT0_EXadL_ZL23quantize_f32_q5_1_blockS2_PS0_EEEvS2_PKT_S4_llllllllllllll15HIP_vector_typeIjLj3EESC_SC_SC_SC_,"axG",@progbits,_ZL16k_set_rows_quantIi10block_q5_1Li32ETnPFvPKfPT0_EXadL_ZL23quantize_f32_q5_1_blockS2_PS0_EEEvS2_PKT_S4_llllllllllllll15HIP_vector_typeIjLj3EESC_SC_SC_SC_,comdat
	.globl	_ZL16k_set_rows_quantIi10block_q5_1Li32ETnPFvPKfPT0_EXadL_ZL23quantize_f32_q5_1_blockS2_PS0_EEEvS2_PKT_S4_llllllllllllll15HIP_vector_typeIjLj3EESC_SC_SC_SC_ ; -- Begin function _ZL16k_set_rows_quantIi10block_q5_1Li32ETnPFvPKfPT0_EXadL_ZL23quantize_f32_q5_1_blockS2_PS0_EEEvS2_PKT_S4_llllllllllllll15HIP_vector_typeIjLj3EESC_SC_SC_SC_
	.p2align	8
	.type	_ZL16k_set_rows_quantIi10block_q5_1Li32ETnPFvPKfPT0_EXadL_ZL23quantize_f32_q5_1_blockS2_PS0_EEEvS2_PKT_S4_llllllllllllll15HIP_vector_typeIjLj3EESC_SC_SC_SC_,@function
_ZL16k_set_rows_quantIi10block_q5_1Li32ETnPFvPKfPT0_EXadL_ZL23quantize_f32_q5_1_blockS2_PS0_EEEvS2_PKT_S4_llllllllllllll15HIP_vector_typeIjLj3EESC_SC_SC_SC_: ; @_ZL16k_set_rows_quantIi10block_q5_1Li32ETnPFvPKfPT0_EXadL_ZL23quantize_f32_q5_1_blockS2_PS0_EEEvS2_PKT_S4_llllllllllllll15HIP_vector_typeIjLj3EESC_SC_SC_SC_
; %bb.0:
	s_load_dword s2, s[4:5], 0xd4
	s_load_dwordx2 s[0:1], s[4:5], 0x18
	v_mov_b32_e32 v1, 0
	v_mov_b32_e32 v2, s6
	s_waitcnt lgkmcnt(0)
	s_and_b32 s2, s2, 0xffff
	v_mad_u64_u32 v[2:3], s[2:3], s2, v2, v[0:1]
	v_cmp_gt_i64_e32 vcc, s[0:1], v[2:3]
	s_and_saveexec_b64 s[0:1], vcc
	s_cbranch_execz .LBB15_4
; %bb.1:
	s_load_dwordx8 s[24:31], s[4:5], 0x88
	v_lshlrev_b32_e32 v5, 5, v2
	s_load_dwordx4 s[36:39], s[4:5], 0x0
	s_load_dwordx2 s[6:7], s[4:5], 0x10
	s_load_dwordx16 s[8:23], s[4:5], 0x40
	s_load_dwordx4 s[0:3], s[4:5], 0xa8
	s_waitcnt lgkmcnt(0)
	v_mul_hi_u32 v0, s24, v5
	v_mov_b32_e32 v10, s37
	v_add_u32_e32 v0, v5, v0
	v_lshrrev_b32_e32 v0, s25, v0
	v_mul_hi_u32 v2, v0, s27
	v_mul_lo_u32 v8, v0, s26
	v_add_u32_e32 v2, v0, v2
	v_lshrrev_b32_e32 v4, s28, v2
	v_mul_lo_u32 v2, v4, s29
	v_mul_hi_u32 v3, v4, s30
	v_sub_u32_e32 v15, v0, v2
	v_add_u32_e32 v2, v4, v3
	v_lshrrev_b32_e32 v12, s31, v2
	v_mad_u64_u32 v[2:3], s[24:25], s8, v15, 0
	v_mul_lo_u32 v6, v12, s0
	v_mov_b32_e32 v0, v3
	v_sub_u32_e32 v13, v4, v6
	v_mad_u64_u32 v[3:4], s[8:9], s9, v15, v[0:1]
	v_mad_u64_u32 v[6:7], s[8:9], s10, v13, 0
	v_sub_u32_e32 v0, v5, v8
	v_lshlrev_b64 v[4:5], 2, v[2:3]
	v_mov_b32_e32 v2, v7
	v_mad_u64_u32 v[2:3], s[8:9], s11, v13, v[2:3]
	v_mad_u64_u32 v[8:9], s[8:9], s12, v12, 0
	v_mov_b32_e32 v7, v2
	v_add_co_u32_e32 v11, vcc, s36, v4
	v_mov_b32_e32 v2, v9
	v_mad_u64_u32 v[2:3], s[8:9], s13, v12, v[2:3]
	v_lshlrev_b64 v[6:7], 2, v[6:7]
	v_addc_co_u32_e32 v10, vcc, v10, v5, vcc
	v_mov_b32_e32 v9, v2
	v_add_co_u32_e32 v3, vcc, v11, v6
	v_lshlrev_b64 v[8:9], 2, v[8:9]
	v_addc_co_u32_e32 v10, vcc, v10, v7, vcc
	v_add_co_u32_e32 v2, vcc, v3, v8
	v_addc_co_u32_e32 v3, vcc, v10, v9, vcc
	v_lshlrev_b64 v[10:11], 2, v[0:1]
	v_lshrrev_b32_e32 v0, 5, v0
	v_add_co_u32_e32 v2, vcc, v2, v10
	v_addc_co_u32_e32 v3, vcc, v3, v11, vcc
	global_load_dwordx4 v[16:19], v[2:3], off
	v_mul_lo_u32 v0, v0, 24
	s_waitcnt vmcnt(0)
	v_cmp_lt_f32_e32 vcc, v17, v16
	v_cndmask_b32_e32 v14, v16, v17, vcc
	v_cmp_lt_f32_e32 vcc, v18, v14
	v_cndmask_b32_e32 v14, v14, v18, vcc
	v_cmp_gt_f32_e32 vcc, v17, v16
	v_cndmask_b32_e32 v16, v16, v17, vcc
	v_cmp_gt_f32_e32 vcc, v18, v16
	v_cndmask_b32_e32 v16, v16, v18, vcc
	v_cmp_lt_f32_e32 vcc, v19, v14
	v_cndmask_b32_e32 v14, v14, v19, vcc
	v_cmp_gt_f32_e32 vcc, v19, v16
	v_cndmask_b32_e32 v20, v16, v19, vcc
	global_load_dwordx4 v[16:19], v[2:3], off offset:16
	s_waitcnt vmcnt(0)
	v_cmp_lt_f32_e32 vcc, v16, v14
	v_cndmask_b32_e32 v14, v14, v16, vcc
	v_cmp_gt_f32_e32 vcc, v16, v20
	v_cndmask_b32_e32 v16, v20, v16, vcc
	v_cmp_lt_f32_e32 vcc, v17, v14
	v_cndmask_b32_e32 v14, v14, v17, vcc
	v_cmp_gt_f32_e32 vcc, v17, v16
	v_cndmask_b32_e32 v16, v16, v17, vcc
	v_cmp_lt_f32_e32 vcc, v18, v14
	v_cndmask_b32_e32 v14, v14, v18, vcc
	v_cmp_gt_f32_e32 vcc, v18, v16
	v_cndmask_b32_e32 v16, v16, v18, vcc
	v_cmp_lt_f32_e32 vcc, v19, v14
	v_cndmask_b32_e32 v14, v14, v19, vcc
	v_cmp_gt_f32_e32 vcc, v19, v16
	v_cndmask_b32_e32 v20, v16, v19, vcc
	global_load_dwordx4 v[16:19], v[2:3], off offset:32
	s_waitcnt vmcnt(0)
	v_cmp_lt_f32_e32 vcc, v16, v14
	v_cndmask_b32_e32 v14, v14, v16, vcc
	v_cmp_gt_f32_e32 vcc, v16, v20
	v_cndmask_b32_e32 v16, v20, v16, vcc
	v_cmp_lt_f32_e32 vcc, v17, v14
	v_cndmask_b32_e32 v14, v14, v17, vcc
	v_cmp_gt_f32_e32 vcc, v17, v16
	v_cndmask_b32_e32 v16, v16, v17, vcc
	v_cmp_lt_f32_e32 vcc, v18, v14
	v_cndmask_b32_e32 v14, v14, v18, vcc
	v_cmp_gt_f32_e32 vcc, v18, v16
	v_cndmask_b32_e32 v16, v16, v18, vcc
	v_cmp_lt_f32_e32 vcc, v19, v14
	v_cndmask_b32_e32 v14, v14, v19, vcc
	v_cmp_gt_f32_e32 vcc, v19, v16
	v_cndmask_b32_e32 v20, v16, v19, vcc
	global_load_dwordx4 v[16:19], v[2:3], off offset:48
	s_waitcnt vmcnt(0)
	v_cmp_lt_f32_e32 vcc, v16, v14
	v_cndmask_b32_e32 v14, v14, v16, vcc
	v_cmp_gt_f32_e32 vcc, v16, v20
	v_cndmask_b32_e32 v16, v20, v16, vcc
	v_cmp_lt_f32_e32 vcc, v17, v14
	v_cndmask_b32_e32 v14, v14, v17, vcc
	v_cmp_gt_f32_e32 vcc, v17, v16
	v_cndmask_b32_e32 v16, v16, v17, vcc
	v_cmp_lt_f32_e32 vcc, v18, v14
	v_cndmask_b32_e32 v14, v14, v18, vcc
	v_cmp_gt_f32_e32 vcc, v18, v16
	v_cndmask_b32_e32 v16, v16, v18, vcc
	v_cmp_lt_f32_e32 vcc, v19, v14
	v_cndmask_b32_e32 v14, v14, v19, vcc
	v_cmp_gt_f32_e32 vcc, v19, v16
	v_cndmask_b32_e32 v20, v16, v19, vcc
	global_load_dwordx4 v[16:19], v[2:3], off offset:64
	s_waitcnt vmcnt(0)
	v_cmp_lt_f32_e32 vcc, v16, v14
	v_cndmask_b32_e32 v14, v14, v16, vcc
	v_cmp_gt_f32_e32 vcc, v16, v20
	v_cndmask_b32_e32 v16, v20, v16, vcc
	v_cmp_lt_f32_e32 vcc, v17, v14
	v_cndmask_b32_e32 v14, v14, v17, vcc
	v_cmp_gt_f32_e32 vcc, v17, v16
	v_cndmask_b32_e32 v16, v16, v17, vcc
	v_cmp_lt_f32_e32 vcc, v18, v14
	v_cndmask_b32_e32 v14, v14, v18, vcc
	v_cmp_gt_f32_e32 vcc, v18, v16
	v_cndmask_b32_e32 v16, v16, v18, vcc
	v_cmp_lt_f32_e32 vcc, v19, v14
	v_cndmask_b32_e32 v14, v14, v19, vcc
	v_cmp_gt_f32_e32 vcc, v19, v16
	v_cndmask_b32_e32 v20, v16, v19, vcc
	global_load_dwordx4 v[16:19], v[2:3], off offset:80
	s_waitcnt vmcnt(0)
	v_cmp_lt_f32_e32 vcc, v16, v14
	v_cndmask_b32_e32 v14, v14, v16, vcc
	v_cmp_gt_f32_e32 vcc, v16, v20
	v_cndmask_b32_e32 v16, v20, v16, vcc
	v_cmp_lt_f32_e32 vcc, v17, v14
	v_cndmask_b32_e32 v14, v14, v17, vcc
	v_cmp_gt_f32_e32 vcc, v17, v16
	v_cndmask_b32_e32 v16, v16, v17, vcc
	v_cmp_lt_f32_e32 vcc, v18, v14
	v_cndmask_b32_e32 v14, v14, v18, vcc
	v_cmp_gt_f32_e32 vcc, v18, v16
	v_cndmask_b32_e32 v16, v16, v18, vcc
	v_cmp_lt_f32_e32 vcc, v19, v14
	v_cndmask_b32_e32 v14, v14, v19, vcc
	v_cmp_gt_f32_e32 vcc, v19, v16
	v_cndmask_b32_e32 v20, v16, v19, vcc
	global_load_dwordx4 v[16:19], v[2:3], off offset:96
	s_waitcnt vmcnt(0)
	v_cmp_lt_f32_e32 vcc, v16, v14
	v_cndmask_b32_e32 v14, v14, v16, vcc
	v_cmp_gt_f32_e32 vcc, v16, v20
	v_cndmask_b32_e32 v16, v20, v16, vcc
	v_cmp_lt_f32_e32 vcc, v17, v14
	v_cndmask_b32_e32 v14, v14, v17, vcc
	v_cmp_gt_f32_e32 vcc, v17, v16
	v_cndmask_b32_e32 v16, v16, v17, vcc
	v_cmp_lt_f32_e32 vcc, v18, v14
	v_cndmask_b32_e32 v14, v14, v18, vcc
	v_cmp_gt_f32_e32 vcc, v18, v16
	v_cndmask_b32_e32 v16, v16, v18, vcc
	v_cmp_lt_f32_e32 vcc, v19, v14
	v_cndmask_b32_e32 v14, v14, v19, vcc
	v_cmp_gt_f32_e32 vcc, v19, v16
	v_cndmask_b32_e32 v20, v16, v19, vcc
	global_load_dwordx4 v[16:19], v[2:3], off offset:112
	s_waitcnt vmcnt(0)
	v_cmp_lt_f32_e32 vcc, v16, v14
	v_cndmask_b32_e32 v14, v14, v16, vcc
	v_cmp_gt_f32_e32 vcc, v16, v20
	v_cndmask_b32_e32 v16, v20, v16, vcc
	v_cmp_lt_f32_e32 vcc, v17, v14
	v_cndmask_b32_e32 v14, v14, v17, vcc
	v_cmp_gt_f32_e32 vcc, v17, v16
	v_cndmask_b32_e32 v16, v16, v17, vcc
	v_cmp_lt_f32_e32 vcc, v18, v14
	v_cndmask_b32_e32 v14, v14, v18, vcc
	v_cmp_gt_f32_e32 vcc, v18, v16
	v_cndmask_b32_e32 v16, v16, v18, vcc
	v_cmp_lt_f32_e32 vcc, v19, v14
	v_cndmask_b32_e32 v14, v14, v19, vcc
	v_cmp_gt_f32_e32 vcc, v19, v16
	v_cndmask_b32_e32 v19, v16, v19, vcc
	v_mad_u64_u32 v[16:17], s[8:9], s14, v15, 0
	v_mad_u64_u32 v[17:18], s[8:9], s15, v15, v[17:18]
	v_lshlrev_b64 v[15:16], 2, v[16:17]
	v_mov_b32_e32 v17, s39
	v_add_co_u32_e32 v18, vcc, s38, v15
	v_mul_hi_u32 v15, v13, s1
	v_addc_co_u32_e32 v20, vcc, v17, v16, vcc
	v_add_u32_e32 v15, v13, v15
	v_lshrrev_b32_e32 v15, s2, v15
	v_mul_lo_u32 v15, v15, s3
	v_sub_u32_e32 v17, v13, v15
	v_mad_u64_u32 v[15:16], s[0:1], s16, v17, 0
	v_mad_u64_u32 v[16:17], s[0:1], s17, v17, v[16:17]
	s_load_dwordx2 s[0:1], s[4:5], 0xb8
	v_lshlrev_b64 v[15:16], 2, v[15:16]
	v_add_co_u32_e32 v18, vcc, v18, v15
	s_waitcnt lgkmcnt(0)
	v_mul_hi_u32 v15, v12, s0
	s_load_dword s0, s[4:5], 0xc0
	v_addc_co_u32_e32 v20, vcc, v20, v16, vcc
	v_add_u32_e32 v15, v12, v15
	v_lshrrev_b32_e32 v15, s1, v15
	s_waitcnt lgkmcnt(0)
	v_mul_lo_u32 v15, v15, s0
	v_sub_u32_e32 v17, v12, v15
	v_mad_u64_u32 v[15:16], s[0:1], s18, v17, 0
	v_mad_u64_u32 v[16:17], s[0:1], s19, v17, v[16:17]
	v_lshlrev_b64 v[15:16], 2, v[15:16]
	v_add_co_u32_e32 v15, vcc, v18, v15
	v_addc_co_u32_e32 v16, vcc, v20, v16, vcc
	global_load_dword v15, v[15:16], off
	v_sub_f32_e32 v20, v19, v14
	s_waitcnt vmcnt(0)
	v_ashrrev_i32_e32 v16, 31, v15
	v_mul_lo_u32 v17, s20, v16
	v_mul_lo_u32 v18, s21, v15
	v_mad_u64_u32 v[15:16], s[0:1], s20, v15, 0
	s_load_dwordx2 s[0:1], s[4:5], 0x80
	s_mov_b32 s4, 0xaaaaaaaa
	v_add3_u32 v16, v16, v17, v18
	s_waitcnt lgkmcnt(0)
	v_mad_u64_u32 v[15:16], s[2:3], s0, v12, v[15:16]
	s_mov_b32 s2, 0x41f80000
	v_mad_u64_u32 v[16:17], s[0:1], s1, v12, v[16:17]
	v_div_scale_f32 v12, s[0:1], s2, s2, v20
	v_mad_u64_u32 v[15:16], s[0:1], s22, v13, v[15:16]
	v_rcp_f32_e32 v17, v12
	v_fma_f32 v18, -v12, v17, 1.0
	v_fmac_f32_e32 v17, v18, v17
	v_div_scale_f32 v18, vcc, v20, s2, v20
	v_mul_f32_e32 v19, v18, v17
	v_fma_f32 v21, -v12, v19, v18
	v_fmac_f32_e32 v19, v21, v17
	v_fma_f32 v12, -v12, v19, v18
	v_div_fmas_f32 v21, v12, v17, v19
	v_mov_b32_e32 v12, v16
	v_mad_u64_u32 v[12:13], s[0:1], s23, v13, v[12:13]
	s_mov_b32 s0, 0xaaaaaaab
	v_mul_hi_u32 v16, v15, s0
	v_mov_b32_e32 v17, v1
	v_mov_b32_e32 v19, v1
	v_mad_u64_u32 v[16:17], s[0:1], v12, s0, v[16:17]
	v_mov_b32_e32 v18, v16
	v_mad_u64_u32 v[15:16], s[0:1], v15, s4, v[18:19]
	v_add_co_u32_e32 v15, vcc, v17, v16
	v_div_fixup_f32 v17, v21, s2, v20
	v_div_scale_f32 v18, s[0:1], v17, v17, 1.0
	v_div_scale_f32 v19, s[0:1], 1.0, v17, 1.0
	v_addc_co_u32_e64 v16, s[2:3], 0, 0, vcc
	v_mad_u64_u32 v[12:13], s[2:3], v12, s4, v[15:16]
	s_mov_b64 vcc, s[0:1]
	s_mov_b64 s[2:3], 0
	v_rcp_f32_e32 v15, v18
	v_fma_f32 v16, -v18, v15, 1.0
	v_fmac_f32_e32 v15, v16, v15
	v_mul_f32_e32 v16, v19, v15
	v_fma_f32 v20, -v18, v16, v19
	v_fmac_f32_e32 v16, v20, v15
	v_fma_f32 v18, -v18, v16, v19
	v_div_fmas_f32 v18, v18, v15, v16
	v_alignbit_b32 v19, v13, v12, 4
	v_lshrrev_b32_e32 v12, 4, v13
	v_mad_u64_u32 v[15:16], s[0:1], v19, 24, s[6:7]
	v_mul_lo_u32 v20, v12, 24
	v_add_co_u32_e32 v12, vcc, v15, v0
	v_add_u32_e32 v13, v20, v16
	v_cvt_f16_f32_e32 v15, v17
	v_cvt_f16_f32_e32 v16, v14
	v_addc_co_u32_e32 v13, vcc, 0, v13, vcc
	v_cmp_neq_f32_e32 vcc, 0, v17
	v_div_fixup_f32 v18, v18, v17, 1.0
	v_pack_b32_f16 v17, v15, v16
	v_mad_u64_u32 v[15:16], s[0:1], v19, 24, v[0:1]
	v_cndmask_b32_e32 v0, 0, v18, vcc
	global_store_dword v[12:13], v17, off
	v_add_u32_e32 v16, v20, v16
	v_mov_b32_e32 v17, s7
	v_add_co_u32_e32 v15, vcc, s6, v15
	v_addc_co_u32_e32 v16, vcc, v17, v16, vcc
	v_add_co_u32_e32 v6, vcc, v8, v6
	v_addc_co_u32_e32 v7, vcc, v9, v7, vcc
	;; [unrolled: 2-line block ×4, first 2 shown]
	v_mov_b32_e32 v6, s37
	v_add_co_u32_e32 v4, vcc, s36, v4
	v_addc_co_u32_e32 v5, vcc, v6, v5, vcc
	v_add_co_u32_e32 v4, vcc, 64, v4
	s_mov_b32 s1, 0
	v_addc_co_u32_e32 v5, vcc, 0, v5, vcc
	v_mov_b32_e32 v6, 15
	v_mov_b32_e32 v7, 0
	;; [unrolled: 1-line block ×3, first 2 shown]
.LBB15_2:                               ; =>This Inner Loop Header: Depth=1
	s_or_b32 s0, s2, 17
	s_lshl_b64 s[4:5], s[0:1], 2
	v_mov_b32_e32 v10, s5
	v_add_co_u32_e32 v9, vcc, s4, v2
	v_addc_co_u32_e32 v10, vcc, v3, v10, vcc
	global_load_dwordx4 v[17:20], v[4:5], off offset:-64
	global_load_dword v11, v[4:5], off
	v_and_b32_e32 v1, 0xffff, v1
	global_load_dword v9, v[9:10], off
	v_and_b32_e32 v7, 0xff0000, v7
	v_or3_b32 v1, v7, v8, v1
	s_waitcnt vmcnt(2)
	v_sub_f32_e32 v17, v17, v14
	s_waitcnt vmcnt(1)
	v_sub_f32_e32 v7, v11, v14
	v_fma_f32 v8, v0, v17, 0.5
	s_waitcnt vmcnt(0)
	v_sub_f32_e32 v9, v9, v14
	v_fma_f32 v9, v0, v9, 0.5
	v_cvt_i32_f32_e32 v21, v9
	v_fma_f32 v7, v0, v7, 0.5
	v_cvt_i32_f32_e32 v11, v8
	v_cvt_i32_f32_e32 v17, v7
	v_lshrrev_b16_e32 v9, 4, v21
	v_and_b32_e32 v9, 1, v9
	v_lshlrev_b32_sdwa v22, s0, v9 dst_sel:DWORD dst_unused:UNUSED_PAD src0_sel:DWORD src1_sel:WORD_0
	s_or_b32 s0, s2, 18
	s_lshl_b64 s[4:5], s[0:1], 2
	v_mov_b32_e32 v10, s5
	v_add_co_u32_e32 v9, vcc, s4, v2
	v_addc_co_u32_e32 v10, vcc, v3, v10, vcc
	global_load_dword v9, v[9:10], off
	v_sub_f32_e32 v18, v18, v14
	v_fma_f32 v10, v0, v18, 0.5
	v_cvt_i32_f32_e32 v10, v10
	v_lshrrev_b16_e32 v7, 4, v11
	v_lshrrev_b16_e32 v8, 4, v17
	s_add_i32 s4, s2, 16
	v_and_b32_e32 v7, 1, v7
	v_and_b32_e32 v8, 1, v8
	v_lshlrev_b32_sdwa v7, s2, v7 dst_sel:DWORD dst_unused:UNUSED_PAD src0_sel:DWORD src1_sel:WORD_0
	v_lshlrev_b32_sdwa v8, s4, v8 dst_sel:DWORD dst_unused:UNUSED_PAD src0_sel:DWORD src1_sel:WORD_0
	v_or3_b32 v1, v7, v1, v8
	v_lshrrev_b16_e32 v7, 4, v10
	s_add_i32 s5, s2, 1
	v_and_b32_e32 v7, 1, v7
	v_lshlrev_b32_sdwa v7, s5, v7 dst_sel:DWORD dst_unused:UNUSED_PAD src0_sel:DWORD src1_sel:WORD_0
	v_or3_b32 v1, v7, v1, v22
	v_sub_f32_e32 v19, v19, v14
	v_and_b32_e32 v11, 15, v11
	v_lshlrev_b16_e32 v17, 4, v17
	v_or_b32_e32 v11, v17, v11
	v_fma_f32 v17, v0, v19, 0.5
	v_sub_f32_e32 v20, v20, v14
	v_cvt_i32_f32_e32 v17, v17
	v_fma_f32 v19, v0, v20, 0.5
	v_cvt_i32_f32_e32 v19, v19
	v_and_b32_sdwa v10, v10, v6 dst_sel:BYTE_1 dst_unused:UNUSED_PAD src0_sel:DWORD src1_sel:DWORD
	v_lshlrev_b16_e32 v20, 12, v21
	v_or_b32_e32 v10, v20, v10
	v_and_b32_e32 v20, 15, v17
	v_lshrrev_b16_e32 v17, 4, v17
	v_and_b32_e32 v17, 1, v17
	v_or_b32_sdwa v10, v11, v10 dst_sel:DWORD dst_unused:UNUSED_PAD src0_sel:BYTE_0 src1_sel:DWORD
	v_and_b32_sdwa v11, v19, v6 dst_sel:BYTE_1 dst_unused:UNUSED_PAD src0_sel:DWORD src1_sel:DWORD
	v_lshrrev_b16_e32 v19, 4, v19
	v_and_b32_e32 v19, 1, v19
	v_and_b32_e32 v19, 0xffff, v19
	s_waitcnt vmcnt(0)
	v_sub_f32_e32 v7, v9, v14
	v_fma_f32 v7, v0, v7, 0.5
	v_cvt_i32_f32_e32 v18, v7
	v_mov_b32_e32 v9, s3
	v_lshrrev_b16_e32 v7, 4, v18
	v_and_b32_e32 v7, 1, v7
	v_lshlrev_b32_sdwa v22, s0, v7 dst_sel:DWORD dst_unused:UNUSED_PAD src0_sel:DWORD src1_sel:WORD_0
	s_or_b32 s0, s2, 19
	s_lshl_b64 s[4:5], s[0:1], 2
	v_mov_b32_e32 v8, s5
	v_add_co_u32_e32 v7, vcc, s4, v2
	v_addc_co_u32_e32 v8, vcc, v3, v8, vcc
	global_load_dword v7, v[7:8], off
	s_add_i32 s4, s2, 2
	v_lshlrev_b32_sdwa v17, s4, v17 dst_sel:DWORD dst_unused:UNUSED_PAD src0_sel:DWORD src1_sel:WORD_0
	v_lshlrev_b16_e32 v18, 4, v18
	v_or3_b32 v1, v17, v1, v22
	v_add_co_u32_e32 v8, vcc, s2, v15
	s_add_i32 s5, s2, 3
	v_or_b32_e32 v18, v18, v20
	v_addc_co_u32_e32 v9, vcc, v16, v9, vcc
	v_lshl_or_b32 v1, v19, s5, v1
	s_add_u32 s2, s2, 4
	v_add_co_u32_e32 v4, vcc, 16, v4
	s_addc_u32 s3, s3, 0
	v_addc_co_u32_e32 v5, vcc, 0, v5, vcc
	s_cmp_lg_u32 s2, 16
	s_waitcnt vmcnt(0)
	v_sub_f32_e32 v7, v7, v14
	v_fma_f32 v7, v0, v7, 0.5
	v_cvt_i32_f32_e32 v7, v7
	v_lshlrev_b16_e32 v17, 12, v7
	v_lshrrev_b16_e32 v7, 4, v7
	v_or_b32_e32 v11, v17, v11
	v_and_b32_e32 v7, 1, v7
	v_or_b32_sdwa v11, v18, v11 dst_sel:WORD_1 dst_unused:UNUSED_PAD src0_sel:BYTE_0 src1_sel:DWORD
	v_and_b32_e32 v7, 0xffff, v7
	v_or_b32_sdwa v10, v10, v11 dst_sel:DWORD dst_unused:UNUSED_PAD src0_sel:WORD_0 src1_sel:DWORD
	v_lshl_or_b32 v7, v7, s0, v1
	global_store_dword v[8:9], v10, off offset:8
	v_and_b32_e32 v8, 0xff000000, v7
	s_cbranch_scc1 .LBB15_2
; %bb.3:
	s_mov_b32 s0, 0xffff
	v_bfi_b32 v0, s0, v1, v7
	global_store_dword v[12:13], v0, off offset:4
.LBB15_4:
	s_endpgm
	.section	.rodata,"a",@progbits
	.p2align	6, 0x0
	.amdhsa_kernel _ZL16k_set_rows_quantIi10block_q5_1Li32ETnPFvPKfPT0_EXadL_ZL23quantize_f32_q5_1_blockS2_PS0_EEEvS2_PKT_S4_llllllllllllll15HIP_vector_typeIjLj3EESC_SC_SC_SC_
		.amdhsa_group_segment_fixed_size 0
		.amdhsa_private_segment_fixed_size 0
		.amdhsa_kernarg_size 456
		.amdhsa_user_sgpr_count 6
		.amdhsa_user_sgpr_private_segment_buffer 1
		.amdhsa_user_sgpr_dispatch_ptr 0
		.amdhsa_user_sgpr_queue_ptr 0
		.amdhsa_user_sgpr_kernarg_segment_ptr 1
		.amdhsa_user_sgpr_dispatch_id 0
		.amdhsa_user_sgpr_flat_scratch_init 0
		.amdhsa_user_sgpr_private_segment_size 0
		.amdhsa_uses_dynamic_stack 0
		.amdhsa_system_sgpr_private_segment_wavefront_offset 0
		.amdhsa_system_sgpr_workgroup_id_x 1
		.amdhsa_system_sgpr_workgroup_id_y 0
		.amdhsa_system_sgpr_workgroup_id_z 0
		.amdhsa_system_sgpr_workgroup_info 0
		.amdhsa_system_vgpr_workitem_id 0
		.amdhsa_next_free_vgpr 23
		.amdhsa_next_free_sgpr 40
		.amdhsa_reserve_vcc 1
		.amdhsa_reserve_flat_scratch 0
		.amdhsa_float_round_mode_32 0
		.amdhsa_float_round_mode_16_64 0
		.amdhsa_float_denorm_mode_32 3
		.amdhsa_float_denorm_mode_16_64 3
		.amdhsa_dx10_clamp 1
		.amdhsa_ieee_mode 1
		.amdhsa_fp16_overflow 0
		.amdhsa_exception_fp_ieee_invalid_op 0
		.amdhsa_exception_fp_denorm_src 0
		.amdhsa_exception_fp_ieee_div_zero 0
		.amdhsa_exception_fp_ieee_overflow 0
		.amdhsa_exception_fp_ieee_underflow 0
		.amdhsa_exception_fp_ieee_inexact 0
		.amdhsa_exception_int_div_zero 0
	.end_amdhsa_kernel
	.section	.text._ZL16k_set_rows_quantIi10block_q5_1Li32ETnPFvPKfPT0_EXadL_ZL23quantize_f32_q5_1_blockS2_PS0_EEEvS2_PKT_S4_llllllllllllll15HIP_vector_typeIjLj3EESC_SC_SC_SC_,"axG",@progbits,_ZL16k_set_rows_quantIi10block_q5_1Li32ETnPFvPKfPT0_EXadL_ZL23quantize_f32_q5_1_blockS2_PS0_EEEvS2_PKT_S4_llllllllllllll15HIP_vector_typeIjLj3EESC_SC_SC_SC_,comdat
.Lfunc_end15:
	.size	_ZL16k_set_rows_quantIi10block_q5_1Li32ETnPFvPKfPT0_EXadL_ZL23quantize_f32_q5_1_blockS2_PS0_EEEvS2_PKT_S4_llllllllllllll15HIP_vector_typeIjLj3EESC_SC_SC_SC_, .Lfunc_end15-_ZL16k_set_rows_quantIi10block_q5_1Li32ETnPFvPKfPT0_EXadL_ZL23quantize_f32_q5_1_blockS2_PS0_EEEvS2_PKT_S4_llllllllllllll15HIP_vector_typeIjLj3EESC_SC_SC_SC_
                                        ; -- End function
	.set _ZL16k_set_rows_quantIi10block_q5_1Li32ETnPFvPKfPT0_EXadL_ZL23quantize_f32_q5_1_blockS2_PS0_EEEvS2_PKT_S4_llllllllllllll15HIP_vector_typeIjLj3EESC_SC_SC_SC_.num_vgpr, 23
	.set _ZL16k_set_rows_quantIi10block_q5_1Li32ETnPFvPKfPT0_EXadL_ZL23quantize_f32_q5_1_blockS2_PS0_EEEvS2_PKT_S4_llllllllllllll15HIP_vector_typeIjLj3EESC_SC_SC_SC_.num_agpr, 0
	.set _ZL16k_set_rows_quantIi10block_q5_1Li32ETnPFvPKfPT0_EXadL_ZL23quantize_f32_q5_1_blockS2_PS0_EEEvS2_PKT_S4_llllllllllllll15HIP_vector_typeIjLj3EESC_SC_SC_SC_.numbered_sgpr, 40
	.set _ZL16k_set_rows_quantIi10block_q5_1Li32ETnPFvPKfPT0_EXadL_ZL23quantize_f32_q5_1_blockS2_PS0_EEEvS2_PKT_S4_llllllllllllll15HIP_vector_typeIjLj3EESC_SC_SC_SC_.num_named_barrier, 0
	.set _ZL16k_set_rows_quantIi10block_q5_1Li32ETnPFvPKfPT0_EXadL_ZL23quantize_f32_q5_1_blockS2_PS0_EEEvS2_PKT_S4_llllllllllllll15HIP_vector_typeIjLj3EESC_SC_SC_SC_.private_seg_size, 0
	.set _ZL16k_set_rows_quantIi10block_q5_1Li32ETnPFvPKfPT0_EXadL_ZL23quantize_f32_q5_1_blockS2_PS0_EEEvS2_PKT_S4_llllllllllllll15HIP_vector_typeIjLj3EESC_SC_SC_SC_.uses_vcc, 1
	.set _ZL16k_set_rows_quantIi10block_q5_1Li32ETnPFvPKfPT0_EXadL_ZL23quantize_f32_q5_1_blockS2_PS0_EEEvS2_PKT_S4_llllllllllllll15HIP_vector_typeIjLj3EESC_SC_SC_SC_.uses_flat_scratch, 0
	.set _ZL16k_set_rows_quantIi10block_q5_1Li32ETnPFvPKfPT0_EXadL_ZL23quantize_f32_q5_1_blockS2_PS0_EEEvS2_PKT_S4_llllllllllllll15HIP_vector_typeIjLj3EESC_SC_SC_SC_.has_dyn_sized_stack, 0
	.set _ZL16k_set_rows_quantIi10block_q5_1Li32ETnPFvPKfPT0_EXadL_ZL23quantize_f32_q5_1_blockS2_PS0_EEEvS2_PKT_S4_llllllllllllll15HIP_vector_typeIjLj3EESC_SC_SC_SC_.has_recursion, 0
	.set _ZL16k_set_rows_quantIi10block_q5_1Li32ETnPFvPKfPT0_EXadL_ZL23quantize_f32_q5_1_blockS2_PS0_EEEvS2_PKT_S4_llllllllllllll15HIP_vector_typeIjLj3EESC_SC_SC_SC_.has_indirect_call, 0
	.section	.AMDGPU.csdata,"",@progbits
; Kernel info:
; codeLenInByte = 2212
; TotalNumSgprs: 44
; NumVgprs: 23
; ScratchSize: 0
; MemoryBound: 0
; FloatMode: 240
; IeeeMode: 1
; LDSByteSize: 0 bytes/workgroup (compile time only)
; SGPRBlocks: 5
; VGPRBlocks: 5
; NumSGPRsForWavesPerEU: 44
; NumVGPRsForWavesPerEU: 23
; Occupancy: 10
; WaveLimiterHint : 1
; COMPUTE_PGM_RSRC2:SCRATCH_EN: 0
; COMPUTE_PGM_RSRC2:USER_SGPR: 6
; COMPUTE_PGM_RSRC2:TRAP_HANDLER: 0
; COMPUTE_PGM_RSRC2:TGID_X_EN: 1
; COMPUTE_PGM_RSRC2:TGID_Y_EN: 0
; COMPUTE_PGM_RSRC2:TGID_Z_EN: 0
; COMPUTE_PGM_RSRC2:TIDIG_COMP_CNT: 0
	.section	.text._ZL16k_set_rows_quantIi10block_q8_0Li32ETnPFvPKfPT0_EXadL_ZL23quantize_f32_q8_0_blockS2_PS0_EEEvS2_PKT_S4_llllllllllllll15HIP_vector_typeIjLj3EESC_SC_SC_SC_,"axG",@progbits,_ZL16k_set_rows_quantIi10block_q8_0Li32ETnPFvPKfPT0_EXadL_ZL23quantize_f32_q8_0_blockS2_PS0_EEEvS2_PKT_S4_llllllllllllll15HIP_vector_typeIjLj3EESC_SC_SC_SC_,comdat
	.globl	_ZL16k_set_rows_quantIi10block_q8_0Li32ETnPFvPKfPT0_EXadL_ZL23quantize_f32_q8_0_blockS2_PS0_EEEvS2_PKT_S4_llllllllllllll15HIP_vector_typeIjLj3EESC_SC_SC_SC_ ; -- Begin function _ZL16k_set_rows_quantIi10block_q8_0Li32ETnPFvPKfPT0_EXadL_ZL23quantize_f32_q8_0_blockS2_PS0_EEEvS2_PKT_S4_llllllllllllll15HIP_vector_typeIjLj3EESC_SC_SC_SC_
	.p2align	8
	.type	_ZL16k_set_rows_quantIi10block_q8_0Li32ETnPFvPKfPT0_EXadL_ZL23quantize_f32_q8_0_blockS2_PS0_EEEvS2_PKT_S4_llllllllllllll15HIP_vector_typeIjLj3EESC_SC_SC_SC_,@function
_ZL16k_set_rows_quantIi10block_q8_0Li32ETnPFvPKfPT0_EXadL_ZL23quantize_f32_q8_0_blockS2_PS0_EEEvS2_PKT_S4_llllllllllllll15HIP_vector_typeIjLj3EESC_SC_SC_SC_: ; @_ZL16k_set_rows_quantIi10block_q8_0Li32ETnPFvPKfPT0_EXadL_ZL23quantize_f32_q8_0_blockS2_PS0_EEEvS2_PKT_S4_llllllllllllll15HIP_vector_typeIjLj3EESC_SC_SC_SC_
; %bb.0:
	s_load_dword s2, s[4:5], 0xd4
	s_load_dwordx2 s[0:1], s[4:5], 0x18
	v_mov_b32_e32 v1, 0
	v_mov_b32_e32 v2, s6
	s_waitcnt lgkmcnt(0)
	s_and_b32 s2, s2, 0xffff
	v_mad_u64_u32 v[2:3], s[2:3], s2, v2, v[0:1]
	v_cmp_gt_i64_e32 vcc, s[0:1], v[2:3]
	s_and_saveexec_b64 s[0:1], vcc
	s_cbranch_execz .LBB16_2
; %bb.1:
	s_load_dwordx8 s[24:31], s[4:5], 0x88
	v_lshlrev_b32_e32 v0, 5, v2
	s_load_dwordx16 s[8:23], s[4:5], 0x40
	s_load_dword s33, s[4:5], 0xc0
	s_waitcnt lgkmcnt(0)
	v_mul_hi_u32 v2, s24, v0
	v_add_u32_e32 v2, v0, v2
	v_lshrrev_b32_e32 v2, s25, v2
	v_mul_hi_u32 v3, v2, s27
	s_load_dwordx2 s[6:7], s[4:5], 0xb8
	s_load_dwordx4 s[36:39], s[4:5], 0xa8
	s_load_dwordx4 s[0:3], s[4:5], 0x0
	s_load_dwordx2 s[24:25], s[4:5], 0x10
	v_mul_lo_u32 v6, v2, s26
	v_add_u32_e32 v3, v2, v3
	v_lshrrev_b32_e32 v4, s28, v3
	v_mul_lo_u32 v3, v4, s29
	v_mul_hi_u32 v5, v4, s30
	v_sub_u32_e32 v0, v0, v6
	s_waitcnt lgkmcnt(0)
	v_mov_b32_e32 v11, s1
	v_sub_u32_e32 v7, v2, v3
	v_add_u32_e32 v2, v4, v5
	v_lshrrev_b32_e32 v40, s31, v2
	v_mul_lo_u32 v5, v40, s36
	v_mad_u64_u32 v[2:3], s[26:27], s14, v7, 0
	v_mul_hi_u32 v8, v40, s6
	v_sub_u32_e32 v41, v4, v5
	v_mul_hi_u32 v4, v41, s37
	v_mov_b32_e32 v10, s3
	v_add_u32_e32 v5, v40, v8
	v_add_u32_e32 v4, v41, v4
	v_lshrrev_b32_e32 v4, s38, v4
	v_mul_lo_u32 v6, v4, s39
	v_mad_u64_u32 v[3:4], s[14:15], s15, v7, v[3:4]
	v_lshrrev_b32_e32 v4, s7, v5
	v_mul_lo_u32 v4, v4, s33
	v_sub_u32_e32 v8, v41, v6
	v_mad_u64_u32 v[18:19], s[6:7], s16, v8, 0
	v_sub_u32_e32 v38, v40, v4
	v_mad_u64_u32 v[4:5], s[6:7], s8, v7, 0
	v_mov_b32_e32 v6, v19
	v_mad_u64_u32 v[19:20], s[6:7], s17, v8, v[6:7]
	v_mad_u64_u32 v[5:6], s[6:7], s9, v7, v[5:6]
	;; [unrolled: 1-line block ×3, first 2 shown]
	v_lshlrev_b64 v[4:5], 2, v[4:5]
	v_lshlrev_b64 v[2:3], 2, v[2:3]
	v_mad_u64_u32 v[7:8], s[6:7], s11, v41, v[7:8]
	v_mad_u64_u32 v[8:9], s[6:7], s12, v40, 0
	v_add_co_u32_e32 v12, vcc, s0, v4
	v_addc_co_u32_e32 v11, vcc, v11, v5, vcc
	v_lshlrev_b64 v[4:5], 2, v[6:7]
	v_mov_b32_e32 v6, v9
	v_mad_u64_u32 v[6:7], s[0:1], s13, v40, v[6:7]
	v_add_co_u32_e32 v7, vcc, v12, v4
	v_mov_b32_e32 v9, v6
	v_addc_co_u32_e32 v11, vcc, v11, v5, vcc
	v_lshlrev_b64 v[4:5], 2, v[8:9]
	v_mad_u64_u32 v[20:21], s[6:7], s18, v38, 0
	v_add_co_u32_e32 v6, vcc, v7, v4
	v_addc_co_u32_e32 v7, vcc, v11, v5, vcc
	v_lshlrev_b64 v[4:5], 2, v[0:1]
	v_lshlrev_b64 v[18:19], 2, v[18:19]
	v_add_co_u32_e32 v4, vcc, v6, v4
	v_addc_co_u32_e32 v5, vcc, v7, v5, vcc
	global_load_dwordx4 v[22:25], v[4:5], off
	global_load_dwordx4 v[26:29], v[4:5], off offset:16
	global_load_dwordx4 v[30:33], v[4:5], off offset:32
	;; [unrolled: 1-line block ×3, first 2 shown]
	v_add_co_u32_e32 v42, vcc, s2, v2
	v_addc_co_u32_e32 v43, vcc, v10, v3, vcc
	global_load_dwordx4 v[14:17], v[4:5], off offset:64
	global_load_dwordx4 v[10:13], v[4:5], off offset:80
	v_mov_b32_e32 v2, v21
	v_mad_u64_u32 v[38:39], s[0:1], s19, v38, v[2:3]
	global_load_dwordx4 v[6:9], v[4:5], off offset:96
	s_nop 0
	global_load_dwordx4 v[2:5], v[4:5], off offset:112
	v_add_co_u32_e32 v18, vcc, v42, v18
	v_mov_b32_e32 v21, v38
	v_lshlrev_b64 v[20:21], 2, v[20:21]
	v_addc_co_u32_e32 v19, vcc, v43, v19, vcc
	v_add_co_u32_e32 v18, vcc, v18, v20
	v_addc_co_u32_e32 v19, vcc, v19, v21, vcc
	global_load_dword v18, v[18:19], off
	s_mov_b32 s6, 0x42fe0000
	v_lshrrev_b32_e32 v0, 5, v0
	s_waitcnt vmcnt(8)
	v_max3_f32 v19, |v22|, 0, |v23|
	v_max3_f32 v19, v19, |v24|, |v25|
	s_waitcnt vmcnt(7)
	v_max3_f32 v19, v19, |v26|, |v27|
	v_max3_f32 v19, v19, |v28|, |v29|
	s_waitcnt vmcnt(6)
	v_max3_f32 v19, v19, |v30|, |v31|
	;; [unrolled: 3-line block ×7, first 2 shown]
	v_max3_f32 v21, v19, |v4|, |v5|
	v_div_scale_f32 v20, s[0:1], s6, s6, v21
	v_div_scale_f32 v38, vcc, v21, s6, v21
	s_waitcnt vmcnt(0)
	v_ashrrev_i32_e32 v39, 31, v18
	v_mul_lo_u32 v42, s21, v18
	v_mad_u64_u32 v[18:19], s[0:1], s20, v18, 0
	v_mul_lo_u32 v39, s20, v39
	s_load_dwordx2 s[0:1], s[4:5], 0x80
	v_add3_u32 v19, v19, v39, v42
	v_rcp_f32_e32 v43, v20
	s_waitcnt lgkmcnt(0)
	v_mad_u64_u32 v[18:19], s[2:3], s0, v40, v[18:19]
	s_mov_b32 s2, 0xf0f0f0f1
	v_fma_f32 v39, -v20, v43, 1.0
	v_fmac_f32_e32 v43, v39, v43
	v_mul_f32_e32 v39, v38, v43
	v_fma_f32 v42, -v20, v39, v38
	v_fmac_f32_e32 v39, v42, v43
	v_fma_f32 v20, -v20, v39, v38
	v_div_fmas_f32 v42, v20, v43, v39
	v_mad_u64_u32 v[19:20], s[0:1], s1, v40, v[19:20]
	v_mov_b32_e32 v39, v1
	v_mad_u64_u32 v[18:19], s[0:1], s22, v41, v[18:19]
	v_mad_u64_u32 v[19:20], s[0:1], s23, v41, v[19:20]
	v_mul_hi_u32 v38, v18, s2
	v_mov_b32_e32 v41, v1
	v_mad_u64_u32 v[38:39], s[0:1], v19, s2, v[38:39]
	v_div_fixup_f32 v20, v42, s6, v21
	v_div_scale_f32 v21, s[0:1], v20, v20, 1.0
	v_div_scale_f32 v1, vcc, 1.0, v20, 1.0
	s_mov_b32 s2, 0xf0f0f0f0
	v_mov_b32_e32 v40, v38
	v_mad_u64_u32 v[40:41], s[0:1], v18, s2, v[40:41]
	v_add_co_u32_e64 v38, s[0:1], v39, v41
	v_addc_co_u32_e64 v39, s[0:1], 0, 0, s[0:1]
	v_mad_u64_u32 v[38:39], s[0:1], v19, s2, v[38:39]
	v_rcp_f32_e32 v18, v21
	v_fma_f32 v19, -v21, v18, 1.0
	v_fmac_f32_e32 v18, v19, v18
	v_mul_f32_e32 v19, v1, v18
	v_fma_f32 v40, -v21, v19, v1
	v_fmac_f32_e32 v19, v40, v18
	v_fma_f32 v1, -v21, v19, v1
	v_div_fmas_f32 v21, v1, v18, v19
	v_alignbit_b32 v1, v39, v38, 5
	v_mad_u64_u32 v[18:19], s[0:1], v1, 34, s[24:25]
	v_lshrrev_b32_e32 v38, 5, v39
	v_cmp_neq_f32_e32 vcc, 0, v20
	v_mov_b32_e32 v1, v19
	v_mad_u64_u32 v[38:39], s[0:1], v38, 34, v[1:2]
	s_brev_b32 s0, -2
	v_mov_b32_e32 v19, v38
	v_div_fixup_f32 v1, v21, v20, 1.0
	v_cndmask_b32_e32 v21, 0, v1, vcc
	v_mul_f32_e32 v38, v22, v21
	v_mul_f32_e32 v22, v24, v21
	v_mul_f32_e32 v24, v27, v21
	v_mul_f32_e32 v27, v30, v21
	v_mul_f32_e32 v39, v23, v21
	v_mul_f32_e32 v1, v25, v21
	v_mul_f32_e32 v23, v26, v21
	v_mul_f32_e32 v25, v28, v21
	v_mul_f32_e32 v26, v29, v21
	v_mul_f32_e32 v28, v31, v21
	v_mul_f32_e32 v29, v32, v21
	v_mul_f32_e32 v32, v35, v21
	v_trunc_f32_e32 v35, v27
	v_mul_f32_e32 v30, v33, v21
	v_mul_f32_e32 v31, v34, v21
	;; [unrolled: 1-line block ×4, first 2 shown]
	v_trunc_f32_e32 v36, v28
	v_sub_f32_e32 v37, v27, v35
	v_sub_f32_e32 v40, v28, v36
	v_cmp_ge_f32_e64 s[2:3], |v37|, 0.5
	v_cndmask_b32_e64 v37, 0, 1.0, s[2:3]
	v_cmp_ge_f32_e64 s[2:3], |v40|, 0.5
	v_cndmask_b32_e64 v40, 0, 1.0, s[2:3]
	v_bfi_b32 v27, s0, v37, v27
	v_bfi_b32 v28, s0, v40, v28
	v_add_f32_e32 v27, v35, v27
	v_trunc_f32_e32 v35, v29
	v_add_f32_e32 v28, v36, v28
	v_sub_f32_e32 v36, v29, v35
	v_cmp_ge_f32_e64 s[2:3], |v36|, 0.5
	v_cndmask_b32_e64 v36, 0, 1.0, s[2:3]
	v_bfi_b32 v29, s0, v36, v29
	v_add_f32_e32 v29, v35, v29
	v_trunc_f32_e32 v35, v30
	v_sub_f32_e32 v36, v30, v35
	v_cmp_ge_f32_e64 s[2:3], |v36|, 0.5
	v_cndmask_b32_e64 v36, 0, 1.0, s[2:3]
	v_bfi_b32 v30, s0, v36, v30
	v_add_f32_e32 v30, v35, v30
	v_trunc_f32_e32 v35, v31
	;; [unrolled: 6-line block ×4, first 2 shown]
	v_sub_f32_e32 v36, v33, v35
	v_cmp_ge_f32_e64 s[2:3], |v36|, 0.5
	v_cvt_i32_f32_e32 v27, v27
	v_cvt_i32_f32_sdwa v28, v28 dst_sel:BYTE_1 dst_unused:UNUSED_PAD src0_sel:DWORD
	v_cvt_i32_f32_e32 v29, v29
	v_cvt_i32_f32_sdwa v30, v30 dst_sel:BYTE_1 dst_unused:UNUSED_PAD src0_sel:DWORD
	v_cndmask_b32_e64 v36, 0, 1.0, s[2:3]
	v_bfi_b32 v33, s0, v36, v33
	v_add_f32_e32 v33, v35, v33
	v_trunc_f32_e32 v35, v34
	v_sub_f32_e32 v36, v34, v35
	v_or_b32_sdwa v27, v27, v28 dst_sel:DWORD dst_unused:UNUSED_PAD src0_sel:BYTE_0 src1_sel:DWORD
	v_or_b32_sdwa v28, v29, v30 dst_sel:WORD_1 dst_unused:UNUSED_PAD src0_sel:BYTE_0 src1_sel:DWORD
	v_trunc_f32_e32 v29, v23
	v_cmp_ge_f32_e64 s[2:3], |v36|, 0.5
	v_sub_f32_e32 v30, v23, v29
	v_cndmask_b32_e64 v36, 0, 1.0, s[2:3]
	v_cmp_ge_f32_e64 s[2:3], |v30|, 0.5
	v_cndmask_b32_e64 v30, 0, 1.0, s[2:3]
	v_bfi_b32 v23, s0, v30, v23
	v_add_f32_e32 v23, v29, v23
	v_trunc_f32_e32 v29, v24
	v_sub_f32_e32 v30, v24, v29
	v_cmp_ge_f32_e64 s[2:3], |v30|, 0.5
	v_cndmask_b32_e64 v30, 0, 1.0, s[2:3]
	v_bfi_b32 v24, s0, v30, v24
	v_add_f32_e32 v24, v29, v24
	v_trunc_f32_e32 v29, v25
	v_sub_f32_e32 v30, v25, v29
	;; [unrolled: 6-line block ×3, first 2 shown]
	v_cmp_ge_f32_e64 s[2:3], |v30|, 0.5
	v_cndmask_b32_e64 v30, 0, 1.0, s[2:3]
	v_bfi_b32 v26, s0, v30, v26
	v_add_f32_e32 v26, v29, v26
	v_cvt_i32_f32_e32 v23, v23
	v_cvt_i32_f32_sdwa v29, v24 dst_sel:BYTE_1 dst_unused:UNUSED_PAD src0_sel:DWORD
	v_cvt_i32_f32_e32 v30, v25
	v_cvt_i32_f32_sdwa v26, v26 dst_sel:BYTE_1 dst_unused:UNUSED_PAD src0_sel:DWORD
	v_or_b32_sdwa v24, v27, v28 dst_sel:DWORD dst_unused:UNUSED_PAD src0_sel:WORD_0 src1_sel:DWORD
	v_or_b32_sdwa v23, v23, v29 dst_sel:DWORD dst_unused:UNUSED_PAD src0_sel:BYTE_0 src1_sel:DWORD
	v_mul_f32_e32 v14, v14, v21
	v_or_b32_sdwa v26, v30, v26 dst_sel:WORD_1 dst_unused:UNUSED_PAD src0_sel:BYTE_0 src1_sel:DWORD
	v_or_b32_sdwa v23, v23, v26 dst_sel:DWORD dst_unused:UNUSED_PAD src0_sel:WORD_0 src1_sel:DWORD
	v_trunc_f32_e32 v26, v38
	v_sub_f32_e32 v27, v38, v26
	v_cmp_ge_f32_e64 s[2:3], |v27|, 0.5
	v_cndmask_b32_e64 v27, 0, 1.0, s[2:3]
	v_bfi_b32 v27, s0, v27, v38
	v_add_f32_e32 v26, v26, v27
	v_trunc_f32_e32 v27, v39
	v_sub_f32_e32 v28, v39, v27
	v_cmp_ge_f32_e64 s[2:3], |v28|, 0.5
	v_cndmask_b32_e64 v28, 0, 1.0, s[2:3]
	v_bfi_b32 v28, s0, v28, v39
	v_add_f32_e32 v27, v27, v28
	;; [unrolled: 6-line block ×4, first 2 shown]
	v_cvt_i32_f32_e32 v26, v26
	v_cvt_i32_f32_sdwa v27, v27 dst_sel:BYTE_1 dst_unused:UNUSED_PAD src0_sel:DWORD
	v_cvt_i32_f32_e32 v22, v22
	v_cvt_i32_f32_sdwa v28, v1 dst_sel:BYTE_1 dst_unused:UNUSED_PAD src0_sel:DWORD
	v_mad_u64_u32 v[0:1], s[2:3], v0, 34, v[18:19]
	v_or_b32_sdwa v18, v26, v27 dst_sel:DWORD dst_unused:UNUSED_PAD src0_sel:BYTE_0 src1_sel:DWORD
	v_or_b32_sdwa v19, v22, v28 dst_sel:WORD_1 dst_unused:UNUSED_PAD src0_sel:BYTE_0 src1_sel:DWORD
	v_or_b32_sdwa v22, v18, v19 dst_sel:DWORD dst_unused:UNUSED_PAD src0_sel:WORD_0 src1_sel:DWORD
	v_cvt_f16_f32_e32 v18, v20
	v_mul_f32_e32 v15, v15, v21
	v_mul_f32_e32 v16, v16, v21
	;; [unrolled: 1-line block ×3, first 2 shown]
	global_store_short v[0:1], v18, off
	v_trunc_f32_e32 v18, v14
	v_sub_f32_e32 v19, v14, v18
	v_cmp_ge_f32_e64 s[2:3], |v19|, 0.5
	v_cndmask_b32_e64 v19, 0, 1.0, s[2:3]
	v_bfi_b32 v14, s0, v19, v14
	v_add_f32_e32 v14, v18, v14
	v_trunc_f32_e32 v18, v15
	v_sub_f32_e32 v19, v15, v18
	v_cmp_ge_f32_e64 s[2:3], |v19|, 0.5
	v_cndmask_b32_e64 v19, 0, 1.0, s[2:3]
	v_bfi_b32 v15, s0, v19, v15
	v_add_f32_e32 v15, v18, v15
	;; [unrolled: 6-line block ×3, first 2 shown]
	v_trunc_f32_e32 v18, v17
	v_sub_f32_e32 v19, v17, v18
	v_cmp_ge_f32_e64 s[2:3], |v19|, 0.5
	v_cndmask_b32_e64 v19, 0, 1.0, s[2:3]
	v_mul_f32_e32 v10, v10, v21
	v_bfi_b32 v17, s0, v19, v17
	v_add_f32_e32 v17, v18, v17
	v_trunc_f32_e32 v18, v10
	v_sub_f32_e32 v19, v10, v18
	v_cmp_ge_f32_e64 s[2:3], |v19|, 0.5
	v_cndmask_b32_e64 v19, 0, 1.0, s[2:3]
	v_mul_f32_e32 v11, v11, v21
	v_bfi_b32 v10, s0, v19, v10
	v_add_f32_e32 v10, v18, v10
	v_trunc_f32_e32 v18, v11
	v_sub_f32_e32 v19, v11, v18
	v_cmp_ge_f32_e64 s[2:3], |v19|, 0.5
	v_cndmask_b32_e64 v19, 0, 1.0, s[2:3]
	v_mul_f32_e32 v12, v12, v21
	v_bfi_b32 v11, s0, v19, v11
	v_add_f32_e32 v11, v18, v11
	v_trunc_f32_e32 v18, v12
	v_sub_f32_e32 v19, v12, v18
	v_cmp_ge_f32_e64 s[2:3], |v19|, 0.5
	v_cndmask_b32_e64 v19, 0, 1.0, s[2:3]
	v_mul_f32_e32 v13, v13, v21
	v_bfi_b32 v12, s0, v19, v12
	v_add_f32_e32 v12, v18, v12
	v_trunc_f32_e32 v18, v13
	v_sub_f32_e32 v19, v13, v18
	v_cmp_ge_f32_e64 s[2:3], |v19|, 0.5
	v_cndmask_b32_e64 v19, 0, 1.0, s[2:3]
	v_mul_f32_e32 v6, v6, v21
	v_bfi_b32 v13, s0, v19, v13
	v_add_f32_e32 v13, v18, v13
	v_trunc_f32_e32 v18, v6
	v_sub_f32_e32 v19, v6, v18
	v_cmp_ge_f32_e64 s[2:3], |v19|, 0.5
	v_cndmask_b32_e64 v19, 0, 1.0, s[2:3]
	v_mul_f32_e32 v7, v7, v21
	v_bfi_b32 v6, s0, v19, v6
	v_add_f32_e32 v6, v18, v6
	v_trunc_f32_e32 v18, v7
	v_sub_f32_e32 v19, v7, v18
	v_cmp_ge_f32_e64 s[2:3], |v19|, 0.5
	v_cndmask_b32_e64 v19, 0, 1.0, s[2:3]
	v_mul_f32_e32 v8, v8, v21
	v_bfi_b32 v7, s0, v19, v7
	v_add_f32_e32 v7, v18, v7
	v_trunc_f32_e32 v18, v8
	v_sub_f32_e32 v19, v8, v18
	v_cmp_ge_f32_e64 s[2:3], |v19|, 0.5
	v_cndmask_b32_e64 v19, 0, 1.0, s[2:3]
	v_mul_f32_e32 v9, v9, v21
	v_bfi_b32 v8, s0, v19, v8
	v_add_f32_e32 v8, v18, v8
	v_trunc_f32_e32 v18, v9
	v_sub_f32_e32 v19, v9, v18
	v_cmp_ge_f32_e64 s[2:3], |v19|, 0.5
	v_mul_f32_e32 v2, v2, v21
	v_cndmask_b32_e64 v19, 0, 1.0, s[2:3]
	v_bfi_b32 v9, s0, v19, v9
	v_trunc_f32_e32 v19, v2
	v_sub_f32_e32 v20, v2, v19
	v_cmp_ge_f32_e64 s[2:3], |v20|, 0.5
	v_cndmask_b32_e64 v20, 0, 1.0, s[2:3]
	v_mul_f32_e32 v3, v3, v21
	v_bfi_b32 v2, s0, v20, v2
	v_add_f32_e32 v2, v19, v2
	v_trunc_f32_e32 v19, v3
	v_sub_f32_e32 v20, v3, v19
	v_cmp_ge_f32_e64 s[2:3], |v20|, 0.5
	v_cndmask_b32_e64 v20, 0, 1.0, s[2:3]
	v_mul_f32_e32 v4, v4, v21
	v_bfi_b32 v3, s0, v20, v3
	v_add_f32_e32 v3, v19, v3
	;; [unrolled: 7-line block ×3, first 2 shown]
	v_trunc_f32_e32 v19, v5
	v_sub_f32_e32 v20, v5, v19
	v_cmp_ge_f32_e64 s[2:3], |v20|, 0.5
	v_cndmask_b32_e64 v20, 0, 1.0, s[2:3]
	v_bfi_b32 v5, s0, v20, v5
	v_add_f32_e32 v5, v19, v5
	v_cvt_i32_f32_e32 v2, v2
	v_cvt_i32_f32_sdwa v3, v3 dst_sel:BYTE_1 dst_unused:UNUSED_PAD src0_sel:DWORD
	v_cvt_i32_f32_e32 v4, v4
	v_cvt_i32_f32_sdwa v5, v5 dst_sel:BYTE_1 dst_unused:UNUSED_PAD src0_sel:DWORD
	v_add_f32_e32 v9, v18, v9
	v_bfi_b32 v34, s0, v36, v34
	v_cvt_i32_f32_e32 v6, v6
	v_cvt_i32_f32_sdwa v7, v7 dst_sel:BYTE_1 dst_unused:UNUSED_PAD src0_sel:DWORD
	v_cvt_i32_f32_e32 v8, v8
	v_cvt_i32_f32_sdwa v9, v9 dst_sel:BYTE_1 dst_unused:UNUSED_PAD src0_sel:DWORD
	v_add_f32_e32 v34, v35, v34
	v_cvt_i32_f32_e32 v10, v10
	v_cvt_i32_f32_sdwa v11, v11 dst_sel:BYTE_1 dst_unused:UNUSED_PAD src0_sel:DWORD
	v_cvt_i32_f32_e32 v12, v12
	v_cvt_i32_f32_sdwa v13, v13 dst_sel:BYTE_1 dst_unused:UNUSED_PAD src0_sel:DWORD
	;; [unrolled: 2-line block ×6, first 2 shown]
	v_or_b32_sdwa v2, v2, v3 dst_sel:DWORD dst_unused:UNUSED_PAD src0_sel:BYTE_0 src1_sel:DWORD
	v_or_b32_sdwa v3, v4, v5 dst_sel:WORD_1 dst_unused:UNUSED_PAD src0_sel:BYTE_0 src1_sel:DWORD
	v_or_b32_sdwa v5, v2, v3 dst_sel:DWORD dst_unused:UNUSED_PAD src0_sel:WORD_0 src1_sel:DWORD
	v_or_b32_sdwa v2, v6, v7 dst_sel:DWORD dst_unused:UNUSED_PAD src0_sel:BYTE_0 src1_sel:DWORD
	v_or_b32_sdwa v3, v8, v9 dst_sel:WORD_1 dst_unused:UNUSED_PAD src0_sel:BYTE_0 src1_sel:DWORD
	v_or_b32_sdwa v4, v2, v3 dst_sel:DWORD dst_unused:UNUSED_PAD src0_sel:WORD_0 src1_sel:DWORD
	v_or_b32_sdwa v2, v10, v11 dst_sel:DWORD dst_unused:UNUSED_PAD src0_sel:BYTE_0 src1_sel:DWORD
	v_or_b32_sdwa v3, v12, v13 dst_sel:WORD_1 dst_unused:UNUSED_PAD src0_sel:BYTE_0 src1_sel:DWORD
	v_or_b32_sdwa v31, v31, v32 dst_sel:DWORD dst_unused:UNUSED_PAD src0_sel:BYTE_0 src1_sel:DWORD
	v_or_b32_sdwa v32, v33, v34 dst_sel:WORD_1 dst_unused:UNUSED_PAD src0_sel:BYTE_0 src1_sel:DWORD
	v_or_b32_sdwa v3, v2, v3 dst_sel:DWORD dst_unused:UNUSED_PAD src0_sel:WORD_0 src1_sel:DWORD
	v_or_b32_sdwa v2, v14, v15 dst_sel:DWORD dst_unused:UNUSED_PAD src0_sel:BYTE_0 src1_sel:DWORD
	v_or_b32_sdwa v6, v16, v17 dst_sel:WORD_1 dst_unused:UNUSED_PAD src0_sel:BYTE_0 src1_sel:DWORD
	v_or_b32_sdwa v25, v31, v32 dst_sel:DWORD dst_unused:UNUSED_PAD src0_sel:WORD_0 src1_sel:DWORD
	v_or_b32_sdwa v2, v2, v6 dst_sel:DWORD dst_unused:UNUSED_PAD src0_sel:WORD_0 src1_sel:DWORD
	global_store_dwordx4 v[0:1], v[22:25], off offset:2
	global_store_dwordx4 v[0:1], v[2:5], off offset:18
.LBB16_2:
	s_endpgm
	.section	.rodata,"a",@progbits
	.p2align	6, 0x0
	.amdhsa_kernel _ZL16k_set_rows_quantIi10block_q8_0Li32ETnPFvPKfPT0_EXadL_ZL23quantize_f32_q8_0_blockS2_PS0_EEEvS2_PKT_S4_llllllllllllll15HIP_vector_typeIjLj3EESC_SC_SC_SC_
		.amdhsa_group_segment_fixed_size 0
		.amdhsa_private_segment_fixed_size 0
		.amdhsa_kernarg_size 456
		.amdhsa_user_sgpr_count 6
		.amdhsa_user_sgpr_private_segment_buffer 1
		.amdhsa_user_sgpr_dispatch_ptr 0
		.amdhsa_user_sgpr_queue_ptr 0
		.amdhsa_user_sgpr_kernarg_segment_ptr 1
		.amdhsa_user_sgpr_dispatch_id 0
		.amdhsa_user_sgpr_flat_scratch_init 0
		.amdhsa_user_sgpr_private_segment_size 0
		.amdhsa_uses_dynamic_stack 0
		.amdhsa_system_sgpr_private_segment_wavefront_offset 0
		.amdhsa_system_sgpr_workgroup_id_x 1
		.amdhsa_system_sgpr_workgroup_id_y 0
		.amdhsa_system_sgpr_workgroup_id_z 0
		.amdhsa_system_sgpr_workgroup_info 0
		.amdhsa_system_vgpr_workitem_id 0
		.amdhsa_next_free_vgpr 44
		.amdhsa_next_free_sgpr 40
		.amdhsa_reserve_vcc 1
		.amdhsa_reserve_flat_scratch 0
		.amdhsa_float_round_mode_32 0
		.amdhsa_float_round_mode_16_64 0
		.amdhsa_float_denorm_mode_32 3
		.amdhsa_float_denorm_mode_16_64 3
		.amdhsa_dx10_clamp 1
		.amdhsa_ieee_mode 1
		.amdhsa_fp16_overflow 0
		.amdhsa_exception_fp_ieee_invalid_op 0
		.amdhsa_exception_fp_denorm_src 0
		.amdhsa_exception_fp_ieee_div_zero 0
		.amdhsa_exception_fp_ieee_overflow 0
		.amdhsa_exception_fp_ieee_underflow 0
		.amdhsa_exception_fp_ieee_inexact 0
		.amdhsa_exception_int_div_zero 0
	.end_amdhsa_kernel
	.section	.text._ZL16k_set_rows_quantIi10block_q8_0Li32ETnPFvPKfPT0_EXadL_ZL23quantize_f32_q8_0_blockS2_PS0_EEEvS2_PKT_S4_llllllllllllll15HIP_vector_typeIjLj3EESC_SC_SC_SC_,"axG",@progbits,_ZL16k_set_rows_quantIi10block_q8_0Li32ETnPFvPKfPT0_EXadL_ZL23quantize_f32_q8_0_blockS2_PS0_EEEvS2_PKT_S4_llllllllllllll15HIP_vector_typeIjLj3EESC_SC_SC_SC_,comdat
.Lfunc_end16:
	.size	_ZL16k_set_rows_quantIi10block_q8_0Li32ETnPFvPKfPT0_EXadL_ZL23quantize_f32_q8_0_blockS2_PS0_EEEvS2_PKT_S4_llllllllllllll15HIP_vector_typeIjLj3EESC_SC_SC_SC_, .Lfunc_end16-_ZL16k_set_rows_quantIi10block_q8_0Li32ETnPFvPKfPT0_EXadL_ZL23quantize_f32_q8_0_blockS2_PS0_EEEvS2_PKT_S4_llllllllllllll15HIP_vector_typeIjLj3EESC_SC_SC_SC_
                                        ; -- End function
	.set _ZL16k_set_rows_quantIi10block_q8_0Li32ETnPFvPKfPT0_EXadL_ZL23quantize_f32_q8_0_blockS2_PS0_EEEvS2_PKT_S4_llllllllllllll15HIP_vector_typeIjLj3EESC_SC_SC_SC_.num_vgpr, 44
	.set _ZL16k_set_rows_quantIi10block_q8_0Li32ETnPFvPKfPT0_EXadL_ZL23quantize_f32_q8_0_blockS2_PS0_EEEvS2_PKT_S4_llllllllllllll15HIP_vector_typeIjLj3EESC_SC_SC_SC_.num_agpr, 0
	.set _ZL16k_set_rows_quantIi10block_q8_0Li32ETnPFvPKfPT0_EXadL_ZL23quantize_f32_q8_0_blockS2_PS0_EEEvS2_PKT_S4_llllllllllllll15HIP_vector_typeIjLj3EESC_SC_SC_SC_.numbered_sgpr, 40
	.set _ZL16k_set_rows_quantIi10block_q8_0Li32ETnPFvPKfPT0_EXadL_ZL23quantize_f32_q8_0_blockS2_PS0_EEEvS2_PKT_S4_llllllllllllll15HIP_vector_typeIjLj3EESC_SC_SC_SC_.num_named_barrier, 0
	.set _ZL16k_set_rows_quantIi10block_q8_0Li32ETnPFvPKfPT0_EXadL_ZL23quantize_f32_q8_0_blockS2_PS0_EEEvS2_PKT_S4_llllllllllllll15HIP_vector_typeIjLj3EESC_SC_SC_SC_.private_seg_size, 0
	.set _ZL16k_set_rows_quantIi10block_q8_0Li32ETnPFvPKfPT0_EXadL_ZL23quantize_f32_q8_0_blockS2_PS0_EEEvS2_PKT_S4_llllllllllllll15HIP_vector_typeIjLj3EESC_SC_SC_SC_.uses_vcc, 1
	.set _ZL16k_set_rows_quantIi10block_q8_0Li32ETnPFvPKfPT0_EXadL_ZL23quantize_f32_q8_0_blockS2_PS0_EEEvS2_PKT_S4_llllllllllllll15HIP_vector_typeIjLj3EESC_SC_SC_SC_.uses_flat_scratch, 0
	.set _ZL16k_set_rows_quantIi10block_q8_0Li32ETnPFvPKfPT0_EXadL_ZL23quantize_f32_q8_0_blockS2_PS0_EEEvS2_PKT_S4_llllllllllllll15HIP_vector_typeIjLj3EESC_SC_SC_SC_.has_dyn_sized_stack, 0
	.set _ZL16k_set_rows_quantIi10block_q8_0Li32ETnPFvPKfPT0_EXadL_ZL23quantize_f32_q8_0_blockS2_PS0_EEEvS2_PKT_S4_llllllllllllll15HIP_vector_typeIjLj3EESC_SC_SC_SC_.has_recursion, 0
	.set _ZL16k_set_rows_quantIi10block_q8_0Li32ETnPFvPKfPT0_EXadL_ZL23quantize_f32_q8_0_blockS2_PS0_EEEvS2_PKT_S4_llllllllllllll15HIP_vector_typeIjLj3EESC_SC_SC_SC_.has_indirect_call, 0
	.section	.AMDGPU.csdata,"",@progbits
; Kernel info:
; codeLenInByte = 2804
; TotalNumSgprs: 44
; NumVgprs: 44
; ScratchSize: 0
; MemoryBound: 0
; FloatMode: 240
; IeeeMode: 1
; LDSByteSize: 0 bytes/workgroup (compile time only)
; SGPRBlocks: 5
; VGPRBlocks: 10
; NumSGPRsForWavesPerEU: 44
; NumVGPRsForWavesPerEU: 44
; Occupancy: 5
; WaveLimiterHint : 1
; COMPUTE_PGM_RSRC2:SCRATCH_EN: 0
; COMPUTE_PGM_RSRC2:USER_SGPR: 6
; COMPUTE_PGM_RSRC2:TRAP_HANDLER: 0
; COMPUTE_PGM_RSRC2:TGID_X_EN: 1
; COMPUTE_PGM_RSRC2:TGID_Y_EN: 0
; COMPUTE_PGM_RSRC2:TGID_Z_EN: 0
; COMPUTE_PGM_RSRC2:TIDIG_COMP_CNT: 0
	.section	.text._ZL16k_set_rows_quantIi12block_iq4_nlLi32ETnPFvPKfPT0_EXadL_ZL25quantize_f32_iq4_nl_blockS2_PS0_EEEvS2_PKT_S4_llllllllllllll15HIP_vector_typeIjLj3EESC_SC_SC_SC_,"axG",@progbits,_ZL16k_set_rows_quantIi12block_iq4_nlLi32ETnPFvPKfPT0_EXadL_ZL25quantize_f32_iq4_nl_blockS2_PS0_EEEvS2_PKT_S4_llllllllllllll15HIP_vector_typeIjLj3EESC_SC_SC_SC_,comdat
	.globl	_ZL16k_set_rows_quantIi12block_iq4_nlLi32ETnPFvPKfPT0_EXadL_ZL25quantize_f32_iq4_nl_blockS2_PS0_EEEvS2_PKT_S4_llllllllllllll15HIP_vector_typeIjLj3EESC_SC_SC_SC_ ; -- Begin function _ZL16k_set_rows_quantIi12block_iq4_nlLi32ETnPFvPKfPT0_EXadL_ZL25quantize_f32_iq4_nl_blockS2_PS0_EEEvS2_PKT_S4_llllllllllllll15HIP_vector_typeIjLj3EESC_SC_SC_SC_
	.p2align	8
	.type	_ZL16k_set_rows_quantIi12block_iq4_nlLi32ETnPFvPKfPT0_EXadL_ZL25quantize_f32_iq4_nl_blockS2_PS0_EEEvS2_PKT_S4_llllllllllllll15HIP_vector_typeIjLj3EESC_SC_SC_SC_,@function
_ZL16k_set_rows_quantIi12block_iq4_nlLi32ETnPFvPKfPT0_EXadL_ZL25quantize_f32_iq4_nl_blockS2_PS0_EEEvS2_PKT_S4_llllllllllllll15HIP_vector_typeIjLj3EESC_SC_SC_SC_: ; @_ZL16k_set_rows_quantIi12block_iq4_nlLi32ETnPFvPKfPT0_EXadL_ZL25quantize_f32_iq4_nl_blockS2_PS0_EEEvS2_PKT_S4_llllllllllllll15HIP_vector_typeIjLj3EESC_SC_SC_SC_
; %bb.0:
	s_load_dword s2, s[4:5], 0xd4
	s_load_dwordx2 s[0:1], s[4:5], 0x18
	v_mov_b32_e32 v1, 0
	v_mov_b32_e32 v2, s6
	s_waitcnt lgkmcnt(0)
	s_and_b32 s2, s2, 0xffff
	v_mad_u64_u32 v[2:3], s[2:3], s2, v2, v[0:1]
	v_cmp_gt_i64_e32 vcc, s[0:1], v[2:3]
	s_and_saveexec_b64 s[0:1], vcc
	s_cbranch_execz .LBB17_16
; %bb.1:
	s_load_dwordx8 s[24:31], s[4:5], 0x88
	v_lshlrev_b32_e32 v8, 5, v2
	s_waitcnt lgkmcnt(0)
	v_mul_hi_u32 v0, s24, v8
	v_add_u32_e32 v0, v8, v0
	v_lshrrev_b32_e32 v0, s25, v0
	v_mul_hi_u32 v2, v0, s27
	s_load_dwordx4 s[0:3], s[4:5], 0x0
	s_load_dwordx2 s[6:7], s[4:5], 0x10
	s_load_dwordx16 s[8:23], s[4:5], 0x40
	s_load_dword s27, s[4:5], 0xc0
	s_load_dwordx2 s[24:25], s[4:5], 0xb8
	s_load_dwordx4 s[36:39], s[4:5], 0xa8
	v_mul_lo_u32 v10, v0, s26
	v_add_u32_e32 v2, v0, v2
	v_lshrrev_b32_e32 v5, s28, v2
	v_mul_lo_u32 v2, v5, s29
	v_mul_hi_u32 v3, v5, s30
	v_sub_u32_e32 v9, v0, v2
	v_add_u32_e32 v2, v5, v3
	v_lshrrev_b32_e32 v4, s31, v2
	s_waitcnt lgkmcnt(0)
	v_mul_lo_u32 v6, v4, s36
	v_mad_u64_u32 v[2:3], s[28:29], s14, v9, 0
	v_mul_hi_u32 v7, v4, s24
	v_sub_u32_e32 v5, v5, v6
	v_mul_hi_u32 v11, v5, s37
	v_mov_b32_e32 v0, v3
	v_add_u32_e32 v3, v4, v7
	v_mad_u64_u32 v[6:7], s[14:15], s15, v9, v[0:1]
	v_lshrrev_b32_e32 v0, s25, v3
	v_mul_lo_u32 v7, v0, s27
	v_add_u32_e32 v0, v5, v11
	v_lshrrev_b32_e32 v0, s38, v0
	v_mul_lo_u32 v11, v0, s39
	v_mov_b32_e32 v3, v6
	v_lshlrev_b64 v[2:3], 2, v[2:3]
	v_sub_u32_e32 v0, v8, v10
	v_sub_u32_e32 v10, v5, v11
	v_mov_b32_e32 v6, s3
	v_mad_u64_u32 v[14:15], s[14:15], s16, v10, 0
	v_add_co_u32_e32 v18, vcc, s2, v2
	v_sub_u32_e32 v8, v4, v7
	v_addc_co_u32_e32 v19, vcc, v6, v3, vcc
	v_mad_u64_u32 v[6:7], s[2:3], s8, v9, 0
	v_mov_b32_e32 v2, v15
	v_mad_u64_u32 v[10:11], s[2:3], s17, v10, v[2:3]
	v_mov_b32_e32 v2, v7
	v_mad_u64_u32 v[16:17], s[2:3], s18, v8, 0
	v_mad_u64_u32 v[2:3], s[2:3], s9, v9, v[2:3]
	v_mov_b32_e32 v3, v17
	v_mad_u64_u32 v[11:12], s[2:3], s19, v8, v[3:4]
	v_mov_b32_e32 v7, v2
	v_lshlrev_b64 v[2:3], 2, v[6:7]
	v_mad_u64_u32 v[6:7], s[2:3], s10, v5, 0
	v_mov_b32_e32 v8, s1
	v_add_co_u32_e32 v9, vcc, s0, v2
	v_mov_b32_e32 v2, v7
	v_addc_co_u32_e32 v8, vcc, v8, v3, vcc
	v_mad_u64_u32 v[2:3], s[0:1], s11, v5, v[2:3]
	v_mov_b32_e32 v15, v10
	v_mov_b32_e32 v17, v11
	;; [unrolled: 1-line block ×3, first 2 shown]
	v_lshlrev_b64 v[2:3], 2, v[6:7]
	v_mad_u64_u32 v[6:7], s[0:1], s12, v4, 0
	v_add_co_u32_e32 v9, vcc, v9, v2
	v_mov_b32_e32 v2, v7
	v_addc_co_u32_e32 v8, vcc, v8, v3, vcc
	v_mad_u64_u32 v[2:3], s[0:1], s13, v4, v[2:3]
	v_lshlrev_b64 v[14:15], 2, v[14:15]
	v_lshlrev_b64 v[16:17], 2, v[16:17]
	v_mov_b32_e32 v7, v2
	v_lshlrev_b64 v[2:3], 2, v[6:7]
	s_mov_b32 s10, 0xc2fe0000
	v_add_co_u32_e32 v6, vcc, v9, v2
	v_addc_co_u32_e32 v7, vcc, v8, v3, vcc
	v_lshlrev_b64 v[2:3], 2, v[0:1]
	v_lshrrev_b32_e32 v0, 5, v0
	v_add_co_u32_e32 v2, vcc, v6, v2
	v_addc_co_u32_e32 v3, vcc, v7, v3, vcc
	global_load_dwordx4 v[6:9], v[2:3], off
	global_load_dwordx4 v[10:13], v[2:3], off offset:16
	v_add_co_u32_e32 v14, vcc, v18, v14
	v_addc_co_u32_e32 v15, vcc, v19, v15, vcc
	v_add_co_u32_e32 v14, vcc, v14, v16
	v_addc_co_u32_e32 v15, vcc, v15, v17, vcc
	s_mov_b32 s11, 0x42e20000
	s_waitcnt vmcnt(1)
	v_cmp_lg_f32_e32 vcc, 0, v6
	v_cndmask_b32_e32 v16, 0, v6, vcc
	v_cndmask_b32_e64 v6, 0, |v6|, vcc
	v_cmp_lt_f32_e64 vcc, v6, |v7|
	v_cndmask_b32_e64 v6, v6, |v7|, vcc
	v_cndmask_b32_e32 v16, v16, v7, vcc
	v_cmp_lt_f32_e64 vcc, v6, |v8|
	v_cndmask_b32_e64 v6, v6, |v8|, vcc
	v_cndmask_b32_e32 v7, v16, v8, vcc
	v_cmp_lt_f32_e64 vcc, v6, |v9|
	v_cndmask_b32_e32 v16, v7, v9, vcc
	v_cndmask_b32_e64 v17, v6, |v9|, vcc
	global_load_dwordx4 v[6:9], v[2:3], off offset:32
	s_waitcnt vmcnt(1)
	v_cmp_lt_f32_e64 vcc, v17, |v10|
	v_cndmask_b32_e32 v16, v16, v10, vcc
	v_cndmask_b32_e64 v10, v17, |v10|, vcc
	v_cmp_lt_f32_e64 vcc, v10, |v11|
	v_cndmask_b32_e64 v10, v10, |v11|, vcc
	v_cndmask_b32_e32 v16, v16, v11, vcc
	v_cmp_lt_f32_e64 vcc, v10, |v12|
	v_cndmask_b32_e64 v10, v10, |v12|, vcc
	v_cndmask_b32_e32 v11, v16, v12, vcc
	v_cmp_lt_f32_e64 vcc, v10, |v13|
	v_cndmask_b32_e32 v16, v11, v13, vcc
	v_cndmask_b32_e64 v17, v10, |v13|, vcc
	global_load_dwordx4 v[10:13], v[2:3], off offset:48
	s_waitcnt vmcnt(1)
	v_cmp_lt_f32_e64 vcc, v17, |v6|
	;; [unrolled: 14-line block ×5, first 2 shown]
	v_cndmask_b32_e32 v16, v16, v10, vcc
	v_cndmask_b32_e64 v10, v17, |v10|, vcc
	v_cmp_lt_f32_e64 vcc, v10, |v11|
	v_cndmask_b32_e64 v10, v10, |v11|, vcc
	v_cndmask_b32_e32 v16, v16, v11, vcc
	v_cmp_lt_f32_e64 vcc, v10, |v12|
	v_cndmask_b32_e64 v10, v10, |v12|, vcc
	v_cndmask_b32_e32 v11, v16, v12, vcc
	v_cmp_lt_f32_e64 vcc, v10, |v13|
	v_cndmask_b32_e32 v16, v11, v13, vcc
	v_cndmask_b32_e64 v17, v10, |v13|, vcc
	global_load_dwordx4 v[10:13], v[2:3], off offset:112
	global_load_dword v18, v[14:15], off
	s_waitcnt vmcnt(2)
	v_cmp_lt_f32_e64 vcc, v17, |v6|
	v_cndmask_b32_e32 v14, v16, v6, vcc
	v_cndmask_b32_e64 v6, v17, |v6|, vcc
	v_cmp_lt_f32_e64 vcc, v6, |v7|
	v_cndmask_b32_e64 v6, v6, |v7|, vcc
	v_cndmask_b32_e32 v14, v14, v7, vcc
	v_cmp_lt_f32_e64 vcc, v6, |v8|
	v_cndmask_b32_e64 v6, v6, |v8|, vcc
	v_cndmask_b32_e32 v7, v14, v8, vcc
	;; [unrolled: 3-line block ×3, first 2 shown]
	s_waitcnt vmcnt(1)
	v_cmp_lt_f32_e64 vcc, v6, |v10|
	v_cndmask_b32_e64 v6, v6, |v10|, vcc
	v_cndmask_b32_e32 v7, v7, v10, vcc
	v_cmp_lt_f32_e64 vcc, v6, |v11|
	v_cndmask_b32_e64 v6, v6, |v11|, vcc
	v_cndmask_b32_e32 v7, v7, v11, vcc
	;; [unrolled: 3-line block ×3, first 2 shown]
	v_cmp_lt_f32_e64 vcc, v6, |v13|
	v_cndmask_b32_e32 v10, v7, v13, vcc
	v_div_scale_f32 v9, s[0:1], s10, s10, v10
	v_div_scale_f32 v12, vcc, v10, s10, v10
	s_waitcnt vmcnt(0)
	v_ashrrev_i32_e32 v6, 31, v18
	v_mul_lo_u32 v8, s20, v6
	v_mad_u64_u32 v[6:7], s[0:1], s20, v18, 0
	v_mul_lo_u32 v11, s21, v18
	s_load_dwordx2 s[0:1], s[4:5], 0x80
	v_add3_u32 v7, v7, v8, v11
	s_waitcnt lgkmcnt(0)
	v_mad_u64_u32 v[6:7], s[2:3], s0, v4, v[6:7]
	v_rcp_f32_e32 v11, v9
	s_mov_b32 s2, 0xe38e38e3
	v_mad_u64_u32 v[7:8], s[0:1], s1, v4, v[7:8]
	v_fma_f32 v4, -v9, v11, 1.0
	v_fmac_f32_e32 v11, v4, v11
	v_mul_f32_e32 v4, v12, v11
	v_fma_f32 v8, -v9, v4, v12
	v_fmac_f32_e32 v4, v8, v11
	v_fma_f32 v8, -v9, v4, v12
	v_div_fmas_f32 v11, v8, v11, v4
	v_mad_u64_u32 v[7:8], s[0:1], s22, v5, v[6:7]
	v_mov_b32_e32 v6, v1
	v_mov_b32_e32 v4, v8
	v_mad_u64_u32 v[4:5], s[0:1], s23, v5, v[4:5]
	s_mov_b32 s0, 0x8e38e38f
	v_mul_hi_u32 v5, v7, s0
	v_mad_u64_u32 v[8:9], s[0:1], v4, s0, v[5:6]
	v_div_fixup_f32 v6, v11, s10, v10
	v_div_scale_f32 v12, s[0:1], v6, v6, 1.0
	v_div_scale_f32 v13, vcc, 1.0, v6, 1.0
	v_mov_b32_e32 v10, v8
	v_mov_b32_e32 v11, v1
	v_mad_u64_u32 v[7:8], s[0:1], v7, s2, v[10:11]
	v_add_co_u32_e64 v7, s[0:1], v9, v8
	v_addc_co_u32_e64 v8, s[0:1], 0, 0, s[0:1]
	v_mad_u64_u32 v[4:5], s[0:1], v4, s2, v[7:8]
	v_rcp_f32_e32 v7, v12
	v_alignbit_b32 v4, v5, v4, 4
	v_lshrrev_b32_e32 v5, 4, v5
	v_fma_f32 v8, -v12, v7, 1.0
	v_fmac_f32_e32 v7, v8, v7
	v_mul_f32_e32 v8, v13, v7
	v_fma_f32 v9, -v12, v8, v13
	v_fmac_f32_e32 v8, v9, v7
	v_fma_f32 v9, -v12, v8, v13
	v_div_fmas_f32 v9, v9, v7, v8
	v_mad_u64_u32 v[7:8], s[0:1], v4, 18, s[6:7]
	v_cmp_neq_f32_e32 vcc, 0, v6
	v_mov_b32_e32 v4, v8
	v_mad_u64_u32 v[4:5], s[0:1], v5, 18, v[4:5]
	s_mov_b32 s1, 0
	s_mov_b32 s0, s1
	v_mov_b32_e32 v8, v4
	v_mad_u64_u32 v[4:5], s[2:3], v0, 18, v[7:8]
	v_div_fixup_f32 v0, v9, v6, 1.0
	v_cndmask_b32_e32 v7, 0, v0, vcc
	v_mov_b32_e32 v0, 0
	s_branch .LBB17_4
.LBB17_2:                               ;   in Loop: Header=BB17_4 Depth=1
	s_or_b64 exec, exec, s[4:5]
.LBB17_3:                               ;   in Loop: Header=BB17_4 Depth=1
	s_or_b64 exec, exec, s[2:3]
	v_and_b32_e32 v12, 0xff, v11
	s_getpc_b64 s[2:3]
	s_add_u32 s2, s2, _ZL13kvalues_iq4nl@rel32@lo+4
	s_addc_u32 s3, s3, _ZL13kvalues_iq4nl@rel32@hi+12
	v_and_b32_e32 v13, 0xff, v10
	global_load_sbyte v14, v12, s[2:3]
	global_load_sbyte v15, v13, s[2:3]
	v_lshl_or_b32 v12, v10, 4, v11
	v_add_co_u32_e32 v10, vcc, s0, v4
	v_addc_co_u32_e32 v11, vcc, 0, v5, vcc
	v_mul_f32_e32 v16, v9, v9
	v_mul_f32_e32 v13, v8, v8
	global_store_byte v[10:11], v12, off offset:2
	s_add_i32 s0, s0, 1
	s_cmp_lg_u32 s0, 16
	s_waitcnt vmcnt(2)
	v_cvt_f32_i32_e32 v14, v14
	s_waitcnt vmcnt(1)
	v_cvt_f32_i32_e32 v15, v15
	v_mul_f32_e32 v10, v13, v14
	v_mul_f32_e32 v11, v16, v15
	;; [unrolled: 1-line block ×4, first 2 shown]
	v_fmac_f32_e32 v9, v8, v10
	v_fmac_f32_e32 v11, v10, v14
	v_add_f32_e32 v1, v1, v9
	v_add_f32_e32 v0, v0, v11
	s_cbranch_scc0 .LBB17_15
.LBB17_4:                               ; =>This Loop Header: Depth=1
                                        ;     Child Loop BB17_7 Depth 2
                                        ;     Child Loop BB17_13 Depth 2
	s_lshl_b64 s[2:3], s[0:1], 2
	v_mov_b32_e32 v8, s3
	v_add_co_u32_e32 v10, vcc, s2, v2
	v_addc_co_u32_e32 v11, vcc, v3, v8, vcc
	global_load_dword v8, v[10:11], off
	global_load_dword v9, v[10:11], off offset:64
	v_mov_b32_e32 v10, 0
	v_mov_b32_e32 v11, 0
	s_waitcnt vmcnt(1)
	v_mul_f32_e32 v12, v7, v8
	v_cmp_nge_f32_e32 vcc, s10, v12
	s_and_saveexec_b64 s[2:3], vcc
	s_cbranch_execz .LBB17_10
; %bb.5:                                ;   in Loop: Header=BB17_4 Depth=1
	v_cmp_nle_f32_e32 vcc, s11, v12
	v_mov_b32_e32 v11, 15
	s_and_saveexec_b64 s[4:5], vcc
	s_cbranch_execz .LBB17_9
; %bb.6:                                ;   in Loop: Header=BB17_4 Depth=1
	v_mov_b32_e32 v13, 0
	v_mov_b32_e32 v11, 15
	s_mov_b64 s[6:7], 0
.LBB17_7:                               ;   Parent Loop BB17_4 Depth=1
                                        ; =>  This Inner Loop Header: Depth=2
	v_add_u32_e32 v14, v13, v11
	v_lshrrev_b32_e32 v15, 31, v14
	v_add_u32_e32 v14, v14, v15
	s_getpc_b64 s[8:9]
	s_add_u32 s8, s8, _ZL13kvalues_iq4nl@rel32@lo+4
	s_addc_u32 s9, s9, _ZL13kvalues_iq4nl@rel32@hi+12
	v_ashrrev_i32_e32 v17, 1, v14
	v_mov_b32_e32 v16, s9
	v_ashrrev_i32_e32 v15, 31, v17
	v_add_co_u32_e32 v14, vcc, s8, v17
	v_addc_co_u32_e32 v15, vcc, v16, v15, vcc
	global_load_sbyte v14, v[14:15], off
	s_waitcnt vmcnt(0)
	v_cvt_f32_i32_e32 v14, v14
	v_cmp_lt_f32_e32 vcc, v12, v14
	v_cndmask_b32_e32 v13, v17, v13, vcc
	v_cndmask_b32_e32 v11, v11, v17, vcc
	v_sub_u32_e32 v14, v11, v13
	v_cmp_gt_i32_e32 vcc, 2, v14
	s_or_b64 s[6:7], vcc, s[6:7]
	s_andn2_b64 exec, exec, s[6:7]
	s_cbranch_execnz .LBB17_7
; %bb.8:                                ;   in Loop: Header=BB17_4 Depth=1
	s_or_b64 exec, exec, s[6:7]
	v_add_u32_e32 v17, -1, v11
	v_ashrrev_i32_e32 v14, 31, v17
	v_mov_b32_e32 v16, s9
	v_add_co_u32_e32 v13, vcc, s8, v17
	v_addc_co_u32_e32 v14, vcc, v16, v14, vcc
	v_ashrrev_i32_e32 v18, 31, v11
	v_add_co_u32_e32 v15, vcc, s8, v11
	v_addc_co_u32_e32 v16, vcc, v16, v18, vcc
	global_load_sbyte v18, v[13:14], off
	global_load_sbyte v19, v[15:16], off
	s_waitcnt vmcnt(1)
	v_cvt_f32_i32_e32 v13, v18
	s_waitcnt vmcnt(0)
	v_cvt_f32_i32_e32 v14, v19
	v_sub_f32_e32 v13, v12, v13
	v_sub_f32_e32 v12, v14, v12
	v_cmp_lt_f32_e32 vcc, v13, v12
	v_cndmask_b32_e32 v11, v11, v17, vcc
.LBB17_9:                               ;   in Loop: Header=BB17_4 Depth=1
	s_or_b64 exec, exec, s[4:5]
.LBB17_10:                              ;   in Loop: Header=BB17_4 Depth=1
	s_or_b64 exec, exec, s[2:3]
	s_waitcnt vmcnt(0)
	v_mul_f32_e32 v12, v7, v9
	v_cmp_nge_f32_e32 vcc, s10, v12
	s_and_saveexec_b64 s[2:3], vcc
	s_cbranch_execz .LBB17_3
; %bb.11:                               ;   in Loop: Header=BB17_4 Depth=1
	v_cmp_nle_f32_e32 vcc, s11, v12
	v_mov_b32_e32 v10, 15
	s_and_saveexec_b64 s[4:5], vcc
	s_cbranch_execz .LBB17_2
; %bb.12:                               ;   in Loop: Header=BB17_4 Depth=1
	v_mov_b32_e32 v13, 0
	v_mov_b32_e32 v10, 15
	s_mov_b64 s[6:7], 0
.LBB17_13:                              ;   Parent Loop BB17_4 Depth=1
                                        ; =>  This Inner Loop Header: Depth=2
	v_add_u32_e32 v14, v13, v10
	v_lshrrev_b32_e32 v15, 31, v14
	v_add_u32_e32 v14, v14, v15
	s_getpc_b64 s[8:9]
	s_add_u32 s8, s8, _ZL13kvalues_iq4nl@rel32@lo+4
	s_addc_u32 s9, s9, _ZL13kvalues_iq4nl@rel32@hi+12
	v_ashrrev_i32_e32 v17, 1, v14
	v_mov_b32_e32 v16, s9
	v_ashrrev_i32_e32 v15, 31, v17
	v_add_co_u32_e32 v14, vcc, s8, v17
	v_addc_co_u32_e32 v15, vcc, v16, v15, vcc
	global_load_sbyte v14, v[14:15], off
	s_waitcnt vmcnt(0)
	v_cvt_f32_i32_e32 v14, v14
	v_cmp_lt_f32_e32 vcc, v12, v14
	v_cndmask_b32_e32 v13, v17, v13, vcc
	v_cndmask_b32_e32 v10, v10, v17, vcc
	v_sub_u32_e32 v14, v10, v13
	v_cmp_gt_i32_e32 vcc, 2, v14
	s_or_b64 s[6:7], vcc, s[6:7]
	s_andn2_b64 exec, exec, s[6:7]
	s_cbranch_execnz .LBB17_13
; %bb.14:                               ;   in Loop: Header=BB17_4 Depth=1
	s_or_b64 exec, exec, s[6:7]
	v_add_u32_e32 v17, -1, v10
	v_ashrrev_i32_e32 v14, 31, v17
	v_mov_b32_e32 v16, s9
	v_add_co_u32_e32 v13, vcc, s8, v17
	v_addc_co_u32_e32 v14, vcc, v16, v14, vcc
	v_ashrrev_i32_e32 v18, 31, v10
	v_add_co_u32_e32 v15, vcc, s8, v10
	v_addc_co_u32_e32 v16, vcc, v16, v18, vcc
	global_load_sbyte v18, v[13:14], off
	global_load_sbyte v19, v[15:16], off
	s_waitcnt vmcnt(1)
	v_cvt_f32_i32_e32 v13, v18
	s_waitcnt vmcnt(0)
	v_cvt_f32_i32_e32 v14, v19
	v_sub_f32_e32 v13, v12, v13
	v_sub_f32_e32 v12, v14, v12
	v_cmp_lt_f32_e32 vcc, v13, v12
	v_cndmask_b32_e32 v10, v10, v17, vcc
	s_branch .LBB17_2
.LBB17_15:
	v_div_scale_f32 v2, s[0:1], v0, v0, v1
	v_div_scale_f32 v3, vcc, v1, v0, v1
	v_rcp_f32_e32 v7, v2
	v_fma_f32 v8, -v2, v7, 1.0
	v_fmac_f32_e32 v7, v8, v7
	v_mul_f32_e32 v8, v3, v7
	v_fma_f32 v9, -v2, v8, v3
	v_fmac_f32_e32 v8, v9, v7
	v_fma_f32 v2, -v2, v8, v3
	v_div_fmas_f32 v2, v2, v7, v8
	v_cmp_lt_f32_e32 vcc, 0, v0
	v_div_fixup_f32 v1, v2, v0, v1
	v_cndmask_b32_e32 v0, v6, v1, vcc
	v_cvt_f16_f32_e32 v0, v0
	global_store_short v[4:5], v0, off
.LBB17_16:
	s_endpgm
	.section	.rodata,"a",@progbits
	.p2align	6, 0x0
	.amdhsa_kernel _ZL16k_set_rows_quantIi12block_iq4_nlLi32ETnPFvPKfPT0_EXadL_ZL25quantize_f32_iq4_nl_blockS2_PS0_EEEvS2_PKT_S4_llllllllllllll15HIP_vector_typeIjLj3EESC_SC_SC_SC_
		.amdhsa_group_segment_fixed_size 0
		.amdhsa_private_segment_fixed_size 0
		.amdhsa_kernarg_size 456
		.amdhsa_user_sgpr_count 6
		.amdhsa_user_sgpr_private_segment_buffer 1
		.amdhsa_user_sgpr_dispatch_ptr 0
		.amdhsa_user_sgpr_queue_ptr 0
		.amdhsa_user_sgpr_kernarg_segment_ptr 1
		.amdhsa_user_sgpr_dispatch_id 0
		.amdhsa_user_sgpr_flat_scratch_init 0
		.amdhsa_user_sgpr_private_segment_size 0
		.amdhsa_uses_dynamic_stack 0
		.amdhsa_system_sgpr_private_segment_wavefront_offset 0
		.amdhsa_system_sgpr_workgroup_id_x 1
		.amdhsa_system_sgpr_workgroup_id_y 0
		.amdhsa_system_sgpr_workgroup_id_z 0
		.amdhsa_system_sgpr_workgroup_info 0
		.amdhsa_system_vgpr_workitem_id 0
		.amdhsa_next_free_vgpr 20
		.amdhsa_next_free_sgpr 40
		.amdhsa_reserve_vcc 1
		.amdhsa_reserve_flat_scratch 0
		.amdhsa_float_round_mode_32 0
		.amdhsa_float_round_mode_16_64 0
		.amdhsa_float_denorm_mode_32 3
		.amdhsa_float_denorm_mode_16_64 3
		.amdhsa_dx10_clamp 1
		.amdhsa_ieee_mode 1
		.amdhsa_fp16_overflow 0
		.amdhsa_exception_fp_ieee_invalid_op 0
		.amdhsa_exception_fp_denorm_src 0
		.amdhsa_exception_fp_ieee_div_zero 0
		.amdhsa_exception_fp_ieee_overflow 0
		.amdhsa_exception_fp_ieee_underflow 0
		.amdhsa_exception_fp_ieee_inexact 0
		.amdhsa_exception_int_div_zero 0
	.end_amdhsa_kernel
	.section	.text._ZL16k_set_rows_quantIi12block_iq4_nlLi32ETnPFvPKfPT0_EXadL_ZL25quantize_f32_iq4_nl_blockS2_PS0_EEEvS2_PKT_S4_llllllllllllll15HIP_vector_typeIjLj3EESC_SC_SC_SC_,"axG",@progbits,_ZL16k_set_rows_quantIi12block_iq4_nlLi32ETnPFvPKfPT0_EXadL_ZL25quantize_f32_iq4_nl_blockS2_PS0_EEEvS2_PKT_S4_llllllllllllll15HIP_vector_typeIjLj3EESC_SC_SC_SC_,comdat
.Lfunc_end17:
	.size	_ZL16k_set_rows_quantIi12block_iq4_nlLi32ETnPFvPKfPT0_EXadL_ZL25quantize_f32_iq4_nl_blockS2_PS0_EEEvS2_PKT_S4_llllllllllllll15HIP_vector_typeIjLj3EESC_SC_SC_SC_, .Lfunc_end17-_ZL16k_set_rows_quantIi12block_iq4_nlLi32ETnPFvPKfPT0_EXadL_ZL25quantize_f32_iq4_nl_blockS2_PS0_EEEvS2_PKT_S4_llllllllllllll15HIP_vector_typeIjLj3EESC_SC_SC_SC_
                                        ; -- End function
	.set _ZL16k_set_rows_quantIi12block_iq4_nlLi32ETnPFvPKfPT0_EXadL_ZL25quantize_f32_iq4_nl_blockS2_PS0_EEEvS2_PKT_S4_llllllllllllll15HIP_vector_typeIjLj3EESC_SC_SC_SC_.num_vgpr, 20
	.set _ZL16k_set_rows_quantIi12block_iq4_nlLi32ETnPFvPKfPT0_EXadL_ZL25quantize_f32_iq4_nl_blockS2_PS0_EEEvS2_PKT_S4_llllllllllllll15HIP_vector_typeIjLj3EESC_SC_SC_SC_.num_agpr, 0
	.set _ZL16k_set_rows_quantIi12block_iq4_nlLi32ETnPFvPKfPT0_EXadL_ZL25quantize_f32_iq4_nl_blockS2_PS0_EEEvS2_PKT_S4_llllllllllllll15HIP_vector_typeIjLj3EESC_SC_SC_SC_.numbered_sgpr, 40
	.set _ZL16k_set_rows_quantIi12block_iq4_nlLi32ETnPFvPKfPT0_EXadL_ZL25quantize_f32_iq4_nl_blockS2_PS0_EEEvS2_PKT_S4_llllllllllllll15HIP_vector_typeIjLj3EESC_SC_SC_SC_.num_named_barrier, 0
	.set _ZL16k_set_rows_quantIi12block_iq4_nlLi32ETnPFvPKfPT0_EXadL_ZL25quantize_f32_iq4_nl_blockS2_PS0_EEEvS2_PKT_S4_llllllllllllll15HIP_vector_typeIjLj3EESC_SC_SC_SC_.private_seg_size, 0
	.set _ZL16k_set_rows_quantIi12block_iq4_nlLi32ETnPFvPKfPT0_EXadL_ZL25quantize_f32_iq4_nl_blockS2_PS0_EEEvS2_PKT_S4_llllllllllllll15HIP_vector_typeIjLj3EESC_SC_SC_SC_.uses_vcc, 1
	.set _ZL16k_set_rows_quantIi12block_iq4_nlLi32ETnPFvPKfPT0_EXadL_ZL25quantize_f32_iq4_nl_blockS2_PS0_EEEvS2_PKT_S4_llllllllllllll15HIP_vector_typeIjLj3EESC_SC_SC_SC_.uses_flat_scratch, 0
	.set _ZL16k_set_rows_quantIi12block_iq4_nlLi32ETnPFvPKfPT0_EXadL_ZL25quantize_f32_iq4_nl_blockS2_PS0_EEEvS2_PKT_S4_llllllllllllll15HIP_vector_typeIjLj3EESC_SC_SC_SC_.has_dyn_sized_stack, 0
	.set _ZL16k_set_rows_quantIi12block_iq4_nlLi32ETnPFvPKfPT0_EXadL_ZL25quantize_f32_iq4_nl_blockS2_PS0_EEEvS2_PKT_S4_llllllllllllll15HIP_vector_typeIjLj3EESC_SC_SC_SC_.has_recursion, 0
	.set _ZL16k_set_rows_quantIi12block_iq4_nlLi32ETnPFvPKfPT0_EXadL_ZL25quantize_f32_iq4_nl_blockS2_PS0_EEEvS2_PKT_S4_llllllllllllll15HIP_vector_typeIjLj3EESC_SC_SC_SC_.has_indirect_call, 0
	.section	.AMDGPU.csdata,"",@progbits
; Kernel info:
; codeLenInByte = 2420
; TotalNumSgprs: 44
; NumVgprs: 20
; ScratchSize: 0
; MemoryBound: 0
; FloatMode: 240
; IeeeMode: 1
; LDSByteSize: 0 bytes/workgroup (compile time only)
; SGPRBlocks: 5
; VGPRBlocks: 4
; NumSGPRsForWavesPerEU: 44
; NumVGPRsForWavesPerEU: 20
; Occupancy: 10
; WaveLimiterHint : 1
; COMPUTE_PGM_RSRC2:SCRATCH_EN: 0
; COMPUTE_PGM_RSRC2:USER_SGPR: 6
; COMPUTE_PGM_RSRC2:TRAP_HANDLER: 0
; COMPUTE_PGM_RSRC2:TGID_X_EN: 1
; COMPUTE_PGM_RSRC2:TGID_Y_EN: 0
; COMPUTE_PGM_RSRC2:TGID_Z_EN: 0
; COMPUTE_PGM_RSRC2:TIDIG_COMP_CNT: 0
	.section	.AMDGPU.gpr_maximums,"",@progbits
	.set amdgpu.max_num_vgpr, 0
	.set amdgpu.max_num_agpr, 0
	.set amdgpu.max_num_sgpr, 0
	.section	.AMDGPU.csdata,"",@progbits
	.type	_ZL13kvalues_iq4nl,@object      ; @_ZL13kvalues_iq4nl
	.section	.rodata.cst16,"aM",@progbits,16
	.p2align	4, 0x0
_ZL13kvalues_iq4nl:
	.ascii	"\201\230\255\277\317\335\352\366\001\r\031&5EYq"
	.size	_ZL13kvalues_iq4nl, 16

	.type	__hip_cuid_1086d29f10aa40ef,@object ; @__hip_cuid_1086d29f10aa40ef
	.section	.bss,"aw",@nobits
	.globl	__hip_cuid_1086d29f10aa40ef
__hip_cuid_1086d29f10aa40ef:
	.byte	0                               ; 0x0
	.size	__hip_cuid_1086d29f10aa40ef, 1

	.ident	"AMD clang version 22.0.0git (https://github.com/RadeonOpenCompute/llvm-project roc-7.2.4 26084 f58b06dce1f9c15707c5f808fd002e18c2accf7e)"
	.section	".note.GNU-stack","",@progbits
	.addrsig
	.addrsig_sym __hip_cuid_1086d29f10aa40ef
	.amdgpu_metadata
---
amdhsa.kernels:
  - .args:
      - .address_space:  global
        .offset:         0
        .size:           8
        .value_kind:     global_buffer
      - .address_space:  global
        .offset:         8
        .size:           8
        .value_kind:     global_buffer
      - .address_space:  global
        .offset:         16
        .size:           8
        .value_kind:     global_buffer
      - .offset:         24
        .size:           8
        .value_kind:     by_value
      - .offset:         32
        .size:           8
        .value_kind:     by_value
      - .offset:         40
        .size:           8
        .value_kind:     by_value
      - .offset:         48
        .size:           8
        .value_kind:     by_value
      - .offset:         56
        .size:           8
        .value_kind:     by_value
      - .offset:         64
        .size:           8
        .value_kind:     by_value
      - .offset:         72
        .size:           8
        .value_kind:     by_value
      - .offset:         80
        .size:           8
        .value_kind:     by_value
      - .offset:         88
        .size:           8
        .value_kind:     by_value
      - .offset:         96
        .size:           8
        .value_kind:     by_value
      - .offset:         104
        .size:           8
        .value_kind:     by_value
      - .offset:         112
        .size:           8
        .value_kind:     by_value
      - .offset:         120
        .size:           8
        .value_kind:     by_value
      - .offset:         128
        .size:           8
        .value_kind:     by_value
      - .offset:         136
        .size:           12
        .value_kind:     by_value
      - .offset:         148
        .size:           12
        .value_kind:     by_value
      - .offset:         160
        .size:           12
        .value_kind:     by_value
      - .offset:         172
        .size:           12
        .value_kind:     by_value
      - .offset:         184
        .size:           12
        .value_kind:     by_value
      - .offset:         200
        .size:           4
        .value_kind:     hidden_block_count_x
      - .offset:         204
        .size:           4
        .value_kind:     hidden_block_count_y
      - .offset:         208
        .size:           4
        .value_kind:     hidden_block_count_z
      - .offset:         212
        .size:           2
        .value_kind:     hidden_group_size_x
      - .offset:         214
        .size:           2
        .value_kind:     hidden_group_size_y
      - .offset:         216
        .size:           2
        .value_kind:     hidden_group_size_z
      - .offset:         218
        .size:           2
        .value_kind:     hidden_remainder_x
      - .offset:         220
        .size:           2
        .value_kind:     hidden_remainder_y
      - .offset:         222
        .size:           2
        .value_kind:     hidden_remainder_z
      - .offset:         240
        .size:           8
        .value_kind:     hidden_global_offset_x
      - .offset:         248
        .size:           8
        .value_kind:     hidden_global_offset_y
      - .offset:         256
        .size:           8
        .value_kind:     hidden_global_offset_z
      - .offset:         264
        .size:           2
        .value_kind:     hidden_grid_dims
    .group_segment_fixed_size: 0
    .kernarg_segment_align: 8
    .kernarg_segment_size: 456
    .language:       OpenCL C
    .language_version:
      - 2
      - 0
    .max_flat_workgroup_size: 1024
    .name:           _ZL10k_set_rowsIflfEvPKT_PKT0_PT1_llllllllllllll15HIP_vector_typeIjLj3EES9_S9_S9_S9_
    .private_segment_fixed_size: 0
    .sgpr_count:     48
    .sgpr_spill_count: 0
    .symbol:         _ZL10k_set_rowsIflfEvPKT_PKT0_PT1_llllllllllllll15HIP_vector_typeIjLj3EES9_S9_S9_S9_.kd
    .uniform_work_group_size: 1
    .uses_dynamic_stack: false
    .vgpr_count:     15
    .vgpr_spill_count: 0
    .wavefront_size: 64
  - .args:
      - .address_space:  global
        .offset:         0
        .size:           8
        .value_kind:     global_buffer
      - .address_space:  global
        .offset:         8
        .size:           8
        .value_kind:     global_buffer
      - .address_space:  global
        .offset:         16
        .size:           8
        .value_kind:     global_buffer
      - .offset:         24
        .size:           8
        .value_kind:     by_value
      - .offset:         32
        .size:           8
        .value_kind:     by_value
      - .offset:         40
        .size:           8
        .value_kind:     by_value
      - .offset:         48
        .size:           8
        .value_kind:     by_value
      - .offset:         56
        .size:           8
        .value_kind:     by_value
      - .offset:         64
        .size:           8
        .value_kind:     by_value
      - .offset:         72
        .size:           8
        .value_kind:     by_value
      - .offset:         80
        .size:           8
        .value_kind:     by_value
      - .offset:         88
        .size:           8
        .value_kind:     by_value
      - .offset:         96
        .size:           8
        .value_kind:     by_value
      - .offset:         104
        .size:           8
        .value_kind:     by_value
      - .offset:         112
        .size:           8
        .value_kind:     by_value
      - .offset:         120
        .size:           8
        .value_kind:     by_value
      - .offset:         128
        .size:           8
        .value_kind:     by_value
      - .offset:         136
        .size:           12
        .value_kind:     by_value
      - .offset:         148
        .size:           12
        .value_kind:     by_value
      - .offset:         160
        .size:           12
        .value_kind:     by_value
      - .offset:         172
        .size:           12
        .value_kind:     by_value
      - .offset:         184
        .size:           12
        .value_kind:     by_value
      - .offset:         200
        .size:           4
        .value_kind:     hidden_block_count_x
      - .offset:         204
        .size:           4
        .value_kind:     hidden_block_count_y
      - .offset:         208
        .size:           4
        .value_kind:     hidden_block_count_z
      - .offset:         212
        .size:           2
        .value_kind:     hidden_group_size_x
      - .offset:         214
        .size:           2
        .value_kind:     hidden_group_size_y
      - .offset:         216
        .size:           2
        .value_kind:     hidden_group_size_z
      - .offset:         218
        .size:           2
        .value_kind:     hidden_remainder_x
      - .offset:         220
        .size:           2
        .value_kind:     hidden_remainder_y
      - .offset:         222
        .size:           2
        .value_kind:     hidden_remainder_z
      - .offset:         240
        .size:           8
        .value_kind:     hidden_global_offset_x
      - .offset:         248
        .size:           8
        .value_kind:     hidden_global_offset_y
      - .offset:         256
        .size:           8
        .value_kind:     hidden_global_offset_z
      - .offset:         264
        .size:           2
        .value_kind:     hidden_grid_dims
    .group_segment_fixed_size: 0
    .kernarg_segment_align: 8
    .kernarg_segment_size: 456
    .language:       OpenCL C
    .language_version:
      - 2
      - 0
    .max_flat_workgroup_size: 1024
    .name:           _ZL10k_set_rowsIfl6__halfEvPKT_PKT0_PT1_llllllllllllll15HIP_vector_typeIjLj3EESA_SA_SA_SA_
    .private_segment_fixed_size: 0
    .sgpr_count:     48
    .sgpr_spill_count: 0
    .symbol:         _ZL10k_set_rowsIfl6__halfEvPKT_PKT0_PT1_llllllllllllll15HIP_vector_typeIjLj3EESA_SA_SA_SA_.kd
    .uniform_work_group_size: 1
    .uses_dynamic_stack: false
    .vgpr_count:     15
    .vgpr_spill_count: 0
    .wavefront_size: 64
  - .args:
      - .address_space:  global
        .offset:         0
        .size:           8
        .value_kind:     global_buffer
      - .address_space:  global
        .offset:         8
        .size:           8
        .value_kind:     global_buffer
      - .address_space:  global
        .offset:         16
        .size:           8
        .value_kind:     global_buffer
      - .offset:         24
        .size:           8
        .value_kind:     by_value
      - .offset:         32
        .size:           8
        .value_kind:     by_value
      - .offset:         40
        .size:           8
        .value_kind:     by_value
      - .offset:         48
        .size:           8
        .value_kind:     by_value
      - .offset:         56
        .size:           8
        .value_kind:     by_value
      - .offset:         64
        .size:           8
        .value_kind:     by_value
      - .offset:         72
        .size:           8
        .value_kind:     by_value
      - .offset:         80
        .size:           8
        .value_kind:     by_value
      - .offset:         88
        .size:           8
        .value_kind:     by_value
      - .offset:         96
        .size:           8
        .value_kind:     by_value
      - .offset:         104
        .size:           8
        .value_kind:     by_value
      - .offset:         112
        .size:           8
        .value_kind:     by_value
      - .offset:         120
        .size:           8
        .value_kind:     by_value
      - .offset:         128
        .size:           8
        .value_kind:     by_value
      - .offset:         136
        .size:           12
        .value_kind:     by_value
      - .offset:         148
        .size:           12
        .value_kind:     by_value
      - .offset:         160
        .size:           12
        .value_kind:     by_value
      - .offset:         172
        .size:           12
        .value_kind:     by_value
      - .offset:         184
        .size:           12
        .value_kind:     by_value
      - .offset:         200
        .size:           4
        .value_kind:     hidden_block_count_x
      - .offset:         204
        .size:           4
        .value_kind:     hidden_block_count_y
      - .offset:         208
        .size:           4
        .value_kind:     hidden_block_count_z
      - .offset:         212
        .size:           2
        .value_kind:     hidden_group_size_x
      - .offset:         214
        .size:           2
        .value_kind:     hidden_group_size_y
      - .offset:         216
        .size:           2
        .value_kind:     hidden_group_size_z
      - .offset:         218
        .size:           2
        .value_kind:     hidden_remainder_x
      - .offset:         220
        .size:           2
        .value_kind:     hidden_remainder_y
      - .offset:         222
        .size:           2
        .value_kind:     hidden_remainder_z
      - .offset:         240
        .size:           8
        .value_kind:     hidden_global_offset_x
      - .offset:         248
        .size:           8
        .value_kind:     hidden_global_offset_y
      - .offset:         256
        .size:           8
        .value_kind:     hidden_global_offset_z
      - .offset:         264
        .size:           2
        .value_kind:     hidden_grid_dims
    .group_segment_fixed_size: 0
    .kernarg_segment_align: 8
    .kernarg_segment_size: 456
    .language:       OpenCL C
    .language_version:
      - 2
      - 0
    .max_flat_workgroup_size: 1024
    .name:           _ZL10k_set_rowsIfl14__hip_bfloat16EvPKT_PKT0_PT1_llllllllllllll15HIP_vector_typeIjLj3EESA_SA_SA_SA_
    .private_segment_fixed_size: 0
    .sgpr_count:     48
    .sgpr_spill_count: 0
    .symbol:         _ZL10k_set_rowsIfl14__hip_bfloat16EvPKT_PKT0_PT1_llllllllllllll15HIP_vector_typeIjLj3EESA_SA_SA_SA_.kd
    .uniform_work_group_size: 1
    .uses_dynamic_stack: false
    .vgpr_count:     15
    .vgpr_spill_count: 0
    .wavefront_size: 64
  - .args:
      - .actual_access:  read_only
        .address_space:  global
        .offset:         0
        .size:           8
        .value_kind:     global_buffer
      - .actual_access:  read_only
        .address_space:  global
        .offset:         8
        .size:           8
        .value_kind:     global_buffer
      - .actual_access:  write_only
        .address_space:  global
        .offset:         16
        .size:           8
        .value_kind:     global_buffer
      - .offset:         24
        .size:           8
        .value_kind:     by_value
      - .offset:         32
        .size:           8
        .value_kind:     by_value
      - .offset:         40
        .size:           8
        .value_kind:     by_value
      - .offset:         48
        .size:           8
        .value_kind:     by_value
      - .offset:         56
        .size:           8
        .value_kind:     by_value
      - .offset:         64
        .size:           8
        .value_kind:     by_value
      - .offset:         72
        .size:           8
        .value_kind:     by_value
      - .offset:         80
        .size:           8
        .value_kind:     by_value
      - .offset:         88
        .size:           8
        .value_kind:     by_value
      - .offset:         96
        .size:           8
        .value_kind:     by_value
      - .offset:         104
        .size:           8
        .value_kind:     by_value
      - .offset:         112
        .size:           8
        .value_kind:     by_value
      - .offset:         120
        .size:           8
        .value_kind:     by_value
      - .offset:         128
        .size:           8
        .value_kind:     by_value
      - .offset:         136
        .size:           12
        .value_kind:     by_value
      - .offset:         148
        .size:           12
        .value_kind:     by_value
      - .offset:         160
        .size:           12
        .value_kind:     by_value
      - .offset:         172
        .size:           12
        .value_kind:     by_value
      - .offset:         184
        .size:           12
        .value_kind:     by_value
      - .offset:         200
        .size:           4
        .value_kind:     hidden_block_count_x
      - .offset:         204
        .size:           4
        .value_kind:     hidden_block_count_y
      - .offset:         208
        .size:           4
        .value_kind:     hidden_block_count_z
      - .offset:         212
        .size:           2
        .value_kind:     hidden_group_size_x
      - .offset:         214
        .size:           2
        .value_kind:     hidden_group_size_y
      - .offset:         216
        .size:           2
        .value_kind:     hidden_group_size_z
      - .offset:         218
        .size:           2
        .value_kind:     hidden_remainder_x
      - .offset:         220
        .size:           2
        .value_kind:     hidden_remainder_y
      - .offset:         222
        .size:           2
        .value_kind:     hidden_remainder_z
      - .offset:         240
        .size:           8
        .value_kind:     hidden_global_offset_x
      - .offset:         248
        .size:           8
        .value_kind:     hidden_global_offset_y
      - .offset:         256
        .size:           8
        .value_kind:     hidden_global_offset_z
      - .offset:         264
        .size:           2
        .value_kind:     hidden_grid_dims
    .group_segment_fixed_size: 0
    .kernarg_segment_align: 8
    .kernarg_segment_size: 456
    .language:       OpenCL C
    .language_version:
      - 2
      - 0
    .max_flat_workgroup_size: 1024
    .name:           _ZL16k_set_rows_quantIl10block_q4_0Li32ETnPFvPKfPT0_EXadL_ZL23quantize_f32_q4_0_blockS2_PS0_EEEvS2_PKT_S4_llllllllllllll15HIP_vector_typeIjLj3EESC_SC_SC_SC_
    .private_segment_fixed_size: 0
    .sgpr_count:     80
    .sgpr_spill_count: 0
    .symbol:         _ZL16k_set_rows_quantIl10block_q4_0Li32ETnPFvPKfPT0_EXadL_ZL23quantize_f32_q4_0_blockS2_PS0_EEEvS2_PKT_S4_llllllllllllll15HIP_vector_typeIjLj3EESC_SC_SC_SC_.kd
    .uniform_work_group_size: 1
    .uses_dynamic_stack: false
    .vgpr_count:     51
    .vgpr_spill_count: 0
    .wavefront_size: 64
  - .args:
      - .actual_access:  read_only
        .address_space:  global
        .offset:         0
        .size:           8
        .value_kind:     global_buffer
      - .actual_access:  read_only
        .address_space:  global
        .offset:         8
        .size:           8
        .value_kind:     global_buffer
      - .actual_access:  write_only
        .address_space:  global
        .offset:         16
        .size:           8
        .value_kind:     global_buffer
      - .offset:         24
        .size:           8
        .value_kind:     by_value
      - .offset:         32
        .size:           8
        .value_kind:     by_value
      - .offset:         40
        .size:           8
        .value_kind:     by_value
      - .offset:         48
        .size:           8
        .value_kind:     by_value
      - .offset:         56
        .size:           8
        .value_kind:     by_value
      - .offset:         64
        .size:           8
        .value_kind:     by_value
      - .offset:         72
        .size:           8
        .value_kind:     by_value
      - .offset:         80
        .size:           8
        .value_kind:     by_value
      - .offset:         88
        .size:           8
        .value_kind:     by_value
      - .offset:         96
        .size:           8
        .value_kind:     by_value
      - .offset:         104
        .size:           8
        .value_kind:     by_value
      - .offset:         112
        .size:           8
        .value_kind:     by_value
      - .offset:         120
        .size:           8
        .value_kind:     by_value
      - .offset:         128
        .size:           8
        .value_kind:     by_value
      - .offset:         136
        .size:           12
        .value_kind:     by_value
      - .offset:         148
        .size:           12
        .value_kind:     by_value
      - .offset:         160
        .size:           12
        .value_kind:     by_value
      - .offset:         172
        .size:           12
        .value_kind:     by_value
      - .offset:         184
        .size:           12
        .value_kind:     by_value
      - .offset:         200
        .size:           4
        .value_kind:     hidden_block_count_x
      - .offset:         204
        .size:           4
        .value_kind:     hidden_block_count_y
      - .offset:         208
        .size:           4
        .value_kind:     hidden_block_count_z
      - .offset:         212
        .size:           2
        .value_kind:     hidden_group_size_x
      - .offset:         214
        .size:           2
        .value_kind:     hidden_group_size_y
      - .offset:         216
        .size:           2
        .value_kind:     hidden_group_size_z
      - .offset:         218
        .size:           2
        .value_kind:     hidden_remainder_x
      - .offset:         220
        .size:           2
        .value_kind:     hidden_remainder_y
      - .offset:         222
        .size:           2
        .value_kind:     hidden_remainder_z
      - .offset:         240
        .size:           8
        .value_kind:     hidden_global_offset_x
      - .offset:         248
        .size:           8
        .value_kind:     hidden_global_offset_y
      - .offset:         256
        .size:           8
        .value_kind:     hidden_global_offset_z
      - .offset:         264
        .size:           2
        .value_kind:     hidden_grid_dims
    .group_segment_fixed_size: 0
    .kernarg_segment_align: 8
    .kernarg_segment_size: 456
    .language:       OpenCL C
    .language_version:
      - 2
      - 0
    .max_flat_workgroup_size: 1024
    .name:           _ZL16k_set_rows_quantIl10block_q4_1Li32ETnPFvPKfPT0_EXadL_ZL23quantize_f32_q4_1_blockS2_PS0_EEEvS2_PKT_S4_llllllllllllll15HIP_vector_typeIjLj3EESC_SC_SC_SC_
    .private_segment_fixed_size: 0
    .sgpr_count:     44
    .sgpr_spill_count: 0
    .symbol:         _ZL16k_set_rows_quantIl10block_q4_1Li32ETnPFvPKfPT0_EXadL_ZL23quantize_f32_q4_1_blockS2_PS0_EEEvS2_PKT_S4_llllllllllllll15HIP_vector_typeIjLj3EESC_SC_SC_SC_.kd
    .uniform_work_group_size: 1
    .uses_dynamic_stack: false
    .vgpr_count:     47
    .vgpr_spill_count: 0
    .wavefront_size: 64
  - .args:
      - .actual_access:  read_only
        .address_space:  global
        .offset:         0
        .size:           8
        .value_kind:     global_buffer
      - .actual_access:  read_only
        .address_space:  global
        .offset:         8
        .size:           8
        .value_kind:     global_buffer
      - .actual_access:  write_only
        .address_space:  global
        .offset:         16
        .size:           8
        .value_kind:     global_buffer
      - .offset:         24
        .size:           8
        .value_kind:     by_value
      - .offset:         32
        .size:           8
        .value_kind:     by_value
      - .offset:         40
        .size:           8
        .value_kind:     by_value
      - .offset:         48
        .size:           8
        .value_kind:     by_value
      - .offset:         56
        .size:           8
        .value_kind:     by_value
      - .offset:         64
        .size:           8
        .value_kind:     by_value
      - .offset:         72
        .size:           8
        .value_kind:     by_value
      - .offset:         80
        .size:           8
        .value_kind:     by_value
      - .offset:         88
        .size:           8
        .value_kind:     by_value
      - .offset:         96
        .size:           8
        .value_kind:     by_value
      - .offset:         104
        .size:           8
        .value_kind:     by_value
      - .offset:         112
        .size:           8
        .value_kind:     by_value
      - .offset:         120
        .size:           8
        .value_kind:     by_value
      - .offset:         128
        .size:           8
        .value_kind:     by_value
      - .offset:         136
        .size:           12
        .value_kind:     by_value
      - .offset:         148
        .size:           12
        .value_kind:     by_value
      - .offset:         160
        .size:           12
        .value_kind:     by_value
      - .offset:         172
        .size:           12
        .value_kind:     by_value
      - .offset:         184
        .size:           12
        .value_kind:     by_value
      - .offset:         200
        .size:           4
        .value_kind:     hidden_block_count_x
      - .offset:         204
        .size:           4
        .value_kind:     hidden_block_count_y
      - .offset:         208
        .size:           4
        .value_kind:     hidden_block_count_z
      - .offset:         212
        .size:           2
        .value_kind:     hidden_group_size_x
      - .offset:         214
        .size:           2
        .value_kind:     hidden_group_size_y
      - .offset:         216
        .size:           2
        .value_kind:     hidden_group_size_z
      - .offset:         218
        .size:           2
        .value_kind:     hidden_remainder_x
      - .offset:         220
        .size:           2
        .value_kind:     hidden_remainder_y
      - .offset:         222
        .size:           2
        .value_kind:     hidden_remainder_z
      - .offset:         240
        .size:           8
        .value_kind:     hidden_global_offset_x
      - .offset:         248
        .size:           8
        .value_kind:     hidden_global_offset_y
      - .offset:         256
        .size:           8
        .value_kind:     hidden_global_offset_z
      - .offset:         264
        .size:           2
        .value_kind:     hidden_grid_dims
    .group_segment_fixed_size: 0
    .kernarg_segment_align: 8
    .kernarg_segment_size: 456
    .language:       OpenCL C
    .language_version:
      - 2
      - 0
    .max_flat_workgroup_size: 1024
    .name:           _ZL16k_set_rows_quantIl10block_q5_0Li32ETnPFvPKfPT0_EXadL_ZL23quantize_f32_q5_0_blockS2_PS0_EEEvS2_PKT_S4_llllllllllllll15HIP_vector_typeIjLj3EESC_SC_SC_SC_
    .private_segment_fixed_size: 0
    .sgpr_count:     44
    .sgpr_spill_count: 0
    .symbol:         _ZL16k_set_rows_quantIl10block_q5_0Li32ETnPFvPKfPT0_EXadL_ZL23quantize_f32_q5_0_blockS2_PS0_EEEvS2_PKT_S4_llllllllllllll15HIP_vector_typeIjLj3EESC_SC_SC_SC_.kd
    .uniform_work_group_size: 1
    .uses_dynamic_stack: false
    .vgpr_count:     22
    .vgpr_spill_count: 0
    .wavefront_size: 64
  - .args:
      - .actual_access:  read_only
        .address_space:  global
        .offset:         0
        .size:           8
        .value_kind:     global_buffer
      - .actual_access:  read_only
        .address_space:  global
        .offset:         8
        .size:           8
        .value_kind:     global_buffer
      - .actual_access:  write_only
        .address_space:  global
        .offset:         16
        .size:           8
        .value_kind:     global_buffer
      - .offset:         24
        .size:           8
        .value_kind:     by_value
      - .offset:         32
        .size:           8
        .value_kind:     by_value
      - .offset:         40
        .size:           8
        .value_kind:     by_value
      - .offset:         48
        .size:           8
        .value_kind:     by_value
      - .offset:         56
        .size:           8
        .value_kind:     by_value
      - .offset:         64
        .size:           8
        .value_kind:     by_value
      - .offset:         72
        .size:           8
        .value_kind:     by_value
      - .offset:         80
        .size:           8
        .value_kind:     by_value
      - .offset:         88
        .size:           8
        .value_kind:     by_value
      - .offset:         96
        .size:           8
        .value_kind:     by_value
      - .offset:         104
        .size:           8
        .value_kind:     by_value
      - .offset:         112
        .size:           8
        .value_kind:     by_value
      - .offset:         120
        .size:           8
        .value_kind:     by_value
      - .offset:         128
        .size:           8
        .value_kind:     by_value
      - .offset:         136
        .size:           12
        .value_kind:     by_value
      - .offset:         148
        .size:           12
        .value_kind:     by_value
      - .offset:         160
        .size:           12
        .value_kind:     by_value
      - .offset:         172
        .size:           12
        .value_kind:     by_value
      - .offset:         184
        .size:           12
        .value_kind:     by_value
      - .offset:         200
        .size:           4
        .value_kind:     hidden_block_count_x
      - .offset:         204
        .size:           4
        .value_kind:     hidden_block_count_y
      - .offset:         208
        .size:           4
        .value_kind:     hidden_block_count_z
      - .offset:         212
        .size:           2
        .value_kind:     hidden_group_size_x
      - .offset:         214
        .size:           2
        .value_kind:     hidden_group_size_y
      - .offset:         216
        .size:           2
        .value_kind:     hidden_group_size_z
      - .offset:         218
        .size:           2
        .value_kind:     hidden_remainder_x
      - .offset:         220
        .size:           2
        .value_kind:     hidden_remainder_y
      - .offset:         222
        .size:           2
        .value_kind:     hidden_remainder_z
      - .offset:         240
        .size:           8
        .value_kind:     hidden_global_offset_x
      - .offset:         248
        .size:           8
        .value_kind:     hidden_global_offset_y
      - .offset:         256
        .size:           8
        .value_kind:     hidden_global_offset_z
      - .offset:         264
        .size:           2
        .value_kind:     hidden_grid_dims
    .group_segment_fixed_size: 0
    .kernarg_segment_align: 8
    .kernarg_segment_size: 456
    .language:       OpenCL C
    .language_version:
      - 2
      - 0
    .max_flat_workgroup_size: 1024
    .name:           _ZL16k_set_rows_quantIl10block_q5_1Li32ETnPFvPKfPT0_EXadL_ZL23quantize_f32_q5_1_blockS2_PS0_EEEvS2_PKT_S4_llllllllllllll15HIP_vector_typeIjLj3EESC_SC_SC_SC_
    .private_segment_fixed_size: 0
    .sgpr_count:     44
    .sgpr_spill_count: 0
    .symbol:         _ZL16k_set_rows_quantIl10block_q5_1Li32ETnPFvPKfPT0_EXadL_ZL23quantize_f32_q5_1_blockS2_PS0_EEEvS2_PKT_S4_llllllllllllll15HIP_vector_typeIjLj3EESC_SC_SC_SC_.kd
    .uniform_work_group_size: 1
    .uses_dynamic_stack: false
    .vgpr_count:     23
    .vgpr_spill_count: 0
    .wavefront_size: 64
  - .args:
      - .actual_access:  read_only
        .address_space:  global
        .offset:         0
        .size:           8
        .value_kind:     global_buffer
      - .actual_access:  read_only
        .address_space:  global
        .offset:         8
        .size:           8
        .value_kind:     global_buffer
      - .actual_access:  write_only
        .address_space:  global
        .offset:         16
        .size:           8
        .value_kind:     global_buffer
      - .offset:         24
        .size:           8
        .value_kind:     by_value
      - .offset:         32
        .size:           8
        .value_kind:     by_value
      - .offset:         40
        .size:           8
        .value_kind:     by_value
      - .offset:         48
        .size:           8
        .value_kind:     by_value
      - .offset:         56
        .size:           8
        .value_kind:     by_value
      - .offset:         64
        .size:           8
        .value_kind:     by_value
      - .offset:         72
        .size:           8
        .value_kind:     by_value
      - .offset:         80
        .size:           8
        .value_kind:     by_value
      - .offset:         88
        .size:           8
        .value_kind:     by_value
      - .offset:         96
        .size:           8
        .value_kind:     by_value
      - .offset:         104
        .size:           8
        .value_kind:     by_value
      - .offset:         112
        .size:           8
        .value_kind:     by_value
      - .offset:         120
        .size:           8
        .value_kind:     by_value
      - .offset:         128
        .size:           8
        .value_kind:     by_value
      - .offset:         136
        .size:           12
        .value_kind:     by_value
      - .offset:         148
        .size:           12
        .value_kind:     by_value
      - .offset:         160
        .size:           12
        .value_kind:     by_value
      - .offset:         172
        .size:           12
        .value_kind:     by_value
      - .offset:         184
        .size:           12
        .value_kind:     by_value
      - .offset:         200
        .size:           4
        .value_kind:     hidden_block_count_x
      - .offset:         204
        .size:           4
        .value_kind:     hidden_block_count_y
      - .offset:         208
        .size:           4
        .value_kind:     hidden_block_count_z
      - .offset:         212
        .size:           2
        .value_kind:     hidden_group_size_x
      - .offset:         214
        .size:           2
        .value_kind:     hidden_group_size_y
      - .offset:         216
        .size:           2
        .value_kind:     hidden_group_size_z
      - .offset:         218
        .size:           2
        .value_kind:     hidden_remainder_x
      - .offset:         220
        .size:           2
        .value_kind:     hidden_remainder_y
      - .offset:         222
        .size:           2
        .value_kind:     hidden_remainder_z
      - .offset:         240
        .size:           8
        .value_kind:     hidden_global_offset_x
      - .offset:         248
        .size:           8
        .value_kind:     hidden_global_offset_y
      - .offset:         256
        .size:           8
        .value_kind:     hidden_global_offset_z
      - .offset:         264
        .size:           2
        .value_kind:     hidden_grid_dims
    .group_segment_fixed_size: 0
    .kernarg_segment_align: 8
    .kernarg_segment_size: 456
    .language:       OpenCL C
    .language_version:
      - 2
      - 0
    .max_flat_workgroup_size: 1024
    .name:           _ZL16k_set_rows_quantIl10block_q8_0Li32ETnPFvPKfPT0_EXadL_ZL23quantize_f32_q8_0_blockS2_PS0_EEEvS2_PKT_S4_llllllllllllll15HIP_vector_typeIjLj3EESC_SC_SC_SC_
    .private_segment_fixed_size: 0
    .sgpr_count:     44
    .sgpr_spill_count: 0
    .symbol:         _ZL16k_set_rows_quantIl10block_q8_0Li32ETnPFvPKfPT0_EXadL_ZL23quantize_f32_q8_0_blockS2_PS0_EEEvS2_PKT_S4_llllllllllllll15HIP_vector_typeIjLj3EESC_SC_SC_SC_.kd
    .uniform_work_group_size: 1
    .uses_dynamic_stack: false
    .vgpr_count:     44
    .vgpr_spill_count: 0
    .wavefront_size: 64
  - .args:
      - .actual_access:  read_only
        .address_space:  global
        .offset:         0
        .size:           8
        .value_kind:     global_buffer
      - .actual_access:  read_only
        .address_space:  global
        .offset:         8
        .size:           8
        .value_kind:     global_buffer
      - .actual_access:  write_only
        .address_space:  global
        .offset:         16
        .size:           8
        .value_kind:     global_buffer
      - .offset:         24
        .size:           8
        .value_kind:     by_value
      - .offset:         32
        .size:           8
        .value_kind:     by_value
      - .offset:         40
        .size:           8
        .value_kind:     by_value
      - .offset:         48
        .size:           8
        .value_kind:     by_value
      - .offset:         56
        .size:           8
        .value_kind:     by_value
      - .offset:         64
        .size:           8
        .value_kind:     by_value
      - .offset:         72
        .size:           8
        .value_kind:     by_value
      - .offset:         80
        .size:           8
        .value_kind:     by_value
      - .offset:         88
        .size:           8
        .value_kind:     by_value
      - .offset:         96
        .size:           8
        .value_kind:     by_value
      - .offset:         104
        .size:           8
        .value_kind:     by_value
      - .offset:         112
        .size:           8
        .value_kind:     by_value
      - .offset:         120
        .size:           8
        .value_kind:     by_value
      - .offset:         128
        .size:           8
        .value_kind:     by_value
      - .offset:         136
        .size:           12
        .value_kind:     by_value
      - .offset:         148
        .size:           12
        .value_kind:     by_value
      - .offset:         160
        .size:           12
        .value_kind:     by_value
      - .offset:         172
        .size:           12
        .value_kind:     by_value
      - .offset:         184
        .size:           12
        .value_kind:     by_value
      - .offset:         200
        .size:           4
        .value_kind:     hidden_block_count_x
      - .offset:         204
        .size:           4
        .value_kind:     hidden_block_count_y
      - .offset:         208
        .size:           4
        .value_kind:     hidden_block_count_z
      - .offset:         212
        .size:           2
        .value_kind:     hidden_group_size_x
      - .offset:         214
        .size:           2
        .value_kind:     hidden_group_size_y
      - .offset:         216
        .size:           2
        .value_kind:     hidden_group_size_z
      - .offset:         218
        .size:           2
        .value_kind:     hidden_remainder_x
      - .offset:         220
        .size:           2
        .value_kind:     hidden_remainder_y
      - .offset:         222
        .size:           2
        .value_kind:     hidden_remainder_z
      - .offset:         240
        .size:           8
        .value_kind:     hidden_global_offset_x
      - .offset:         248
        .size:           8
        .value_kind:     hidden_global_offset_y
      - .offset:         256
        .size:           8
        .value_kind:     hidden_global_offset_z
      - .offset:         264
        .size:           2
        .value_kind:     hidden_grid_dims
    .group_segment_fixed_size: 0
    .kernarg_segment_align: 8
    .kernarg_segment_size: 456
    .language:       OpenCL C
    .language_version:
      - 2
      - 0
    .max_flat_workgroup_size: 1024
    .name:           _ZL16k_set_rows_quantIl12block_iq4_nlLi32ETnPFvPKfPT0_EXadL_ZL25quantize_f32_iq4_nl_blockS2_PS0_EEEvS2_PKT_S4_llllllllllllll15HIP_vector_typeIjLj3EESC_SC_SC_SC_
    .private_segment_fixed_size: 0
    .sgpr_count:     44
    .sgpr_spill_count: 0
    .symbol:         _ZL16k_set_rows_quantIl12block_iq4_nlLi32ETnPFvPKfPT0_EXadL_ZL25quantize_f32_iq4_nl_blockS2_PS0_EEEvS2_PKT_S4_llllllllllllll15HIP_vector_typeIjLj3EESC_SC_SC_SC_.kd
    .uniform_work_group_size: 1
    .uses_dynamic_stack: false
    .vgpr_count:     20
    .vgpr_spill_count: 0
    .wavefront_size: 64
  - .args:
      - .address_space:  global
        .offset:         0
        .size:           8
        .value_kind:     global_buffer
      - .address_space:  global
        .offset:         8
        .size:           8
        .value_kind:     global_buffer
      - .address_space:  global
        .offset:         16
        .size:           8
        .value_kind:     global_buffer
      - .offset:         24
        .size:           8
        .value_kind:     by_value
      - .offset:         32
        .size:           8
        .value_kind:     by_value
      - .offset:         40
        .size:           8
        .value_kind:     by_value
      - .offset:         48
        .size:           8
        .value_kind:     by_value
      - .offset:         56
        .size:           8
        .value_kind:     by_value
      - .offset:         64
        .size:           8
        .value_kind:     by_value
      - .offset:         72
        .size:           8
        .value_kind:     by_value
      - .offset:         80
        .size:           8
        .value_kind:     by_value
      - .offset:         88
        .size:           8
        .value_kind:     by_value
      - .offset:         96
        .size:           8
        .value_kind:     by_value
      - .offset:         104
        .size:           8
        .value_kind:     by_value
      - .offset:         112
        .size:           8
        .value_kind:     by_value
      - .offset:         120
        .size:           8
        .value_kind:     by_value
      - .offset:         128
        .size:           8
        .value_kind:     by_value
      - .offset:         136
        .size:           12
        .value_kind:     by_value
      - .offset:         148
        .size:           12
        .value_kind:     by_value
      - .offset:         160
        .size:           12
        .value_kind:     by_value
      - .offset:         172
        .size:           12
        .value_kind:     by_value
      - .offset:         184
        .size:           12
        .value_kind:     by_value
      - .offset:         200
        .size:           4
        .value_kind:     hidden_block_count_x
      - .offset:         204
        .size:           4
        .value_kind:     hidden_block_count_y
      - .offset:         208
        .size:           4
        .value_kind:     hidden_block_count_z
      - .offset:         212
        .size:           2
        .value_kind:     hidden_group_size_x
      - .offset:         214
        .size:           2
        .value_kind:     hidden_group_size_y
      - .offset:         216
        .size:           2
        .value_kind:     hidden_group_size_z
      - .offset:         218
        .size:           2
        .value_kind:     hidden_remainder_x
      - .offset:         220
        .size:           2
        .value_kind:     hidden_remainder_y
      - .offset:         222
        .size:           2
        .value_kind:     hidden_remainder_z
      - .offset:         240
        .size:           8
        .value_kind:     hidden_global_offset_x
      - .offset:         248
        .size:           8
        .value_kind:     hidden_global_offset_y
      - .offset:         256
        .size:           8
        .value_kind:     hidden_global_offset_z
      - .offset:         264
        .size:           2
        .value_kind:     hidden_grid_dims
    .group_segment_fixed_size: 0
    .kernarg_segment_align: 8
    .kernarg_segment_size: 456
    .language:       OpenCL C
    .language_version:
      - 2
      - 0
    .max_flat_workgroup_size: 1024
    .name:           _ZL10k_set_rowsIfifEvPKT_PKT0_PT1_llllllllllllll15HIP_vector_typeIjLj3EES9_S9_S9_S9_
    .private_segment_fixed_size: 0
    .sgpr_count:     48
    .sgpr_spill_count: 0
    .symbol:         _ZL10k_set_rowsIfifEvPKT_PKT0_PT1_llllllllllllll15HIP_vector_typeIjLj3EES9_S9_S9_S9_.kd
    .uniform_work_group_size: 1
    .uses_dynamic_stack: false
    .vgpr_count:     15
    .vgpr_spill_count: 0
    .wavefront_size: 64
  - .args:
      - .address_space:  global
        .offset:         0
        .size:           8
        .value_kind:     global_buffer
      - .address_space:  global
        .offset:         8
        .size:           8
        .value_kind:     global_buffer
      - .address_space:  global
        .offset:         16
        .size:           8
        .value_kind:     global_buffer
      - .offset:         24
        .size:           8
        .value_kind:     by_value
      - .offset:         32
        .size:           8
        .value_kind:     by_value
      - .offset:         40
        .size:           8
        .value_kind:     by_value
      - .offset:         48
        .size:           8
        .value_kind:     by_value
      - .offset:         56
        .size:           8
        .value_kind:     by_value
      - .offset:         64
        .size:           8
        .value_kind:     by_value
      - .offset:         72
        .size:           8
        .value_kind:     by_value
      - .offset:         80
        .size:           8
        .value_kind:     by_value
      - .offset:         88
        .size:           8
        .value_kind:     by_value
      - .offset:         96
        .size:           8
        .value_kind:     by_value
      - .offset:         104
        .size:           8
        .value_kind:     by_value
      - .offset:         112
        .size:           8
        .value_kind:     by_value
      - .offset:         120
        .size:           8
        .value_kind:     by_value
      - .offset:         128
        .size:           8
        .value_kind:     by_value
      - .offset:         136
        .size:           12
        .value_kind:     by_value
      - .offset:         148
        .size:           12
        .value_kind:     by_value
      - .offset:         160
        .size:           12
        .value_kind:     by_value
      - .offset:         172
        .size:           12
        .value_kind:     by_value
      - .offset:         184
        .size:           12
        .value_kind:     by_value
      - .offset:         200
        .size:           4
        .value_kind:     hidden_block_count_x
      - .offset:         204
        .size:           4
        .value_kind:     hidden_block_count_y
      - .offset:         208
        .size:           4
        .value_kind:     hidden_block_count_z
      - .offset:         212
        .size:           2
        .value_kind:     hidden_group_size_x
      - .offset:         214
        .size:           2
        .value_kind:     hidden_group_size_y
      - .offset:         216
        .size:           2
        .value_kind:     hidden_group_size_z
      - .offset:         218
        .size:           2
        .value_kind:     hidden_remainder_x
      - .offset:         220
        .size:           2
        .value_kind:     hidden_remainder_y
      - .offset:         222
        .size:           2
        .value_kind:     hidden_remainder_z
      - .offset:         240
        .size:           8
        .value_kind:     hidden_global_offset_x
      - .offset:         248
        .size:           8
        .value_kind:     hidden_global_offset_y
      - .offset:         256
        .size:           8
        .value_kind:     hidden_global_offset_z
      - .offset:         264
        .size:           2
        .value_kind:     hidden_grid_dims
    .group_segment_fixed_size: 0
    .kernarg_segment_align: 8
    .kernarg_segment_size: 456
    .language:       OpenCL C
    .language_version:
      - 2
      - 0
    .max_flat_workgroup_size: 1024
    .name:           _ZL10k_set_rowsIfi6__halfEvPKT_PKT0_PT1_llllllllllllll15HIP_vector_typeIjLj3EESA_SA_SA_SA_
    .private_segment_fixed_size: 0
    .sgpr_count:     48
    .sgpr_spill_count: 0
    .symbol:         _ZL10k_set_rowsIfi6__halfEvPKT_PKT0_PT1_llllllllllllll15HIP_vector_typeIjLj3EESA_SA_SA_SA_.kd
    .uniform_work_group_size: 1
    .uses_dynamic_stack: false
    .vgpr_count:     15
    .vgpr_spill_count: 0
    .wavefront_size: 64
  - .args:
      - .address_space:  global
        .offset:         0
        .size:           8
        .value_kind:     global_buffer
      - .address_space:  global
        .offset:         8
        .size:           8
        .value_kind:     global_buffer
      - .address_space:  global
        .offset:         16
        .size:           8
        .value_kind:     global_buffer
      - .offset:         24
        .size:           8
        .value_kind:     by_value
      - .offset:         32
        .size:           8
        .value_kind:     by_value
      - .offset:         40
        .size:           8
        .value_kind:     by_value
      - .offset:         48
        .size:           8
        .value_kind:     by_value
      - .offset:         56
        .size:           8
        .value_kind:     by_value
      - .offset:         64
        .size:           8
        .value_kind:     by_value
      - .offset:         72
        .size:           8
        .value_kind:     by_value
      - .offset:         80
        .size:           8
        .value_kind:     by_value
      - .offset:         88
        .size:           8
        .value_kind:     by_value
      - .offset:         96
        .size:           8
        .value_kind:     by_value
      - .offset:         104
        .size:           8
        .value_kind:     by_value
      - .offset:         112
        .size:           8
        .value_kind:     by_value
      - .offset:         120
        .size:           8
        .value_kind:     by_value
      - .offset:         128
        .size:           8
        .value_kind:     by_value
      - .offset:         136
        .size:           12
        .value_kind:     by_value
      - .offset:         148
        .size:           12
        .value_kind:     by_value
      - .offset:         160
        .size:           12
        .value_kind:     by_value
      - .offset:         172
        .size:           12
        .value_kind:     by_value
      - .offset:         184
        .size:           12
        .value_kind:     by_value
      - .offset:         200
        .size:           4
        .value_kind:     hidden_block_count_x
      - .offset:         204
        .size:           4
        .value_kind:     hidden_block_count_y
      - .offset:         208
        .size:           4
        .value_kind:     hidden_block_count_z
      - .offset:         212
        .size:           2
        .value_kind:     hidden_group_size_x
      - .offset:         214
        .size:           2
        .value_kind:     hidden_group_size_y
      - .offset:         216
        .size:           2
        .value_kind:     hidden_group_size_z
      - .offset:         218
        .size:           2
        .value_kind:     hidden_remainder_x
      - .offset:         220
        .size:           2
        .value_kind:     hidden_remainder_y
      - .offset:         222
        .size:           2
        .value_kind:     hidden_remainder_z
      - .offset:         240
        .size:           8
        .value_kind:     hidden_global_offset_x
      - .offset:         248
        .size:           8
        .value_kind:     hidden_global_offset_y
      - .offset:         256
        .size:           8
        .value_kind:     hidden_global_offset_z
      - .offset:         264
        .size:           2
        .value_kind:     hidden_grid_dims
    .group_segment_fixed_size: 0
    .kernarg_segment_align: 8
    .kernarg_segment_size: 456
    .language:       OpenCL C
    .language_version:
      - 2
      - 0
    .max_flat_workgroup_size: 1024
    .name:           _ZL10k_set_rowsIfi14__hip_bfloat16EvPKT_PKT0_PT1_llllllllllllll15HIP_vector_typeIjLj3EESA_SA_SA_SA_
    .private_segment_fixed_size: 0
    .sgpr_count:     48
    .sgpr_spill_count: 0
    .symbol:         _ZL10k_set_rowsIfi14__hip_bfloat16EvPKT_PKT0_PT1_llllllllllllll15HIP_vector_typeIjLj3EESA_SA_SA_SA_.kd
    .uniform_work_group_size: 1
    .uses_dynamic_stack: false
    .vgpr_count:     15
    .vgpr_spill_count: 0
    .wavefront_size: 64
  - .args:
      - .actual_access:  read_only
        .address_space:  global
        .offset:         0
        .size:           8
        .value_kind:     global_buffer
      - .actual_access:  read_only
        .address_space:  global
        .offset:         8
        .size:           8
        .value_kind:     global_buffer
      - .actual_access:  write_only
        .address_space:  global
        .offset:         16
        .size:           8
        .value_kind:     global_buffer
      - .offset:         24
        .size:           8
        .value_kind:     by_value
      - .offset:         32
        .size:           8
        .value_kind:     by_value
      - .offset:         40
        .size:           8
        .value_kind:     by_value
      - .offset:         48
        .size:           8
        .value_kind:     by_value
      - .offset:         56
        .size:           8
        .value_kind:     by_value
      - .offset:         64
        .size:           8
        .value_kind:     by_value
      - .offset:         72
        .size:           8
        .value_kind:     by_value
      - .offset:         80
        .size:           8
        .value_kind:     by_value
      - .offset:         88
        .size:           8
        .value_kind:     by_value
      - .offset:         96
        .size:           8
        .value_kind:     by_value
      - .offset:         104
        .size:           8
        .value_kind:     by_value
      - .offset:         112
        .size:           8
        .value_kind:     by_value
      - .offset:         120
        .size:           8
        .value_kind:     by_value
      - .offset:         128
        .size:           8
        .value_kind:     by_value
      - .offset:         136
        .size:           12
        .value_kind:     by_value
      - .offset:         148
        .size:           12
        .value_kind:     by_value
      - .offset:         160
        .size:           12
        .value_kind:     by_value
      - .offset:         172
        .size:           12
        .value_kind:     by_value
      - .offset:         184
        .size:           12
        .value_kind:     by_value
      - .offset:         200
        .size:           4
        .value_kind:     hidden_block_count_x
      - .offset:         204
        .size:           4
        .value_kind:     hidden_block_count_y
      - .offset:         208
        .size:           4
        .value_kind:     hidden_block_count_z
      - .offset:         212
        .size:           2
        .value_kind:     hidden_group_size_x
      - .offset:         214
        .size:           2
        .value_kind:     hidden_group_size_y
      - .offset:         216
        .size:           2
        .value_kind:     hidden_group_size_z
      - .offset:         218
        .size:           2
        .value_kind:     hidden_remainder_x
      - .offset:         220
        .size:           2
        .value_kind:     hidden_remainder_y
      - .offset:         222
        .size:           2
        .value_kind:     hidden_remainder_z
      - .offset:         240
        .size:           8
        .value_kind:     hidden_global_offset_x
      - .offset:         248
        .size:           8
        .value_kind:     hidden_global_offset_y
      - .offset:         256
        .size:           8
        .value_kind:     hidden_global_offset_z
      - .offset:         264
        .size:           2
        .value_kind:     hidden_grid_dims
    .group_segment_fixed_size: 0
    .kernarg_segment_align: 8
    .kernarg_segment_size: 456
    .language:       OpenCL C
    .language_version:
      - 2
      - 0
    .max_flat_workgroup_size: 1024
    .name:           _ZL16k_set_rows_quantIi10block_q4_0Li32ETnPFvPKfPT0_EXadL_ZL23quantize_f32_q4_0_blockS2_PS0_EEEvS2_PKT_S4_llllllllllllll15HIP_vector_typeIjLj3EESC_SC_SC_SC_
    .private_segment_fixed_size: 0
    .sgpr_count:     80
    .sgpr_spill_count: 0
    .symbol:         _ZL16k_set_rows_quantIi10block_q4_0Li32ETnPFvPKfPT0_EXadL_ZL23quantize_f32_q4_0_blockS2_PS0_EEEvS2_PKT_S4_llllllllllllll15HIP_vector_typeIjLj3EESC_SC_SC_SC_.kd
    .uniform_work_group_size: 1
    .uses_dynamic_stack: false
    .vgpr_count:     50
    .vgpr_spill_count: 0
    .wavefront_size: 64
  - .args:
      - .actual_access:  read_only
        .address_space:  global
        .offset:         0
        .size:           8
        .value_kind:     global_buffer
      - .actual_access:  read_only
        .address_space:  global
        .offset:         8
        .size:           8
        .value_kind:     global_buffer
      - .actual_access:  write_only
        .address_space:  global
        .offset:         16
        .size:           8
        .value_kind:     global_buffer
      - .offset:         24
        .size:           8
        .value_kind:     by_value
      - .offset:         32
        .size:           8
        .value_kind:     by_value
      - .offset:         40
        .size:           8
        .value_kind:     by_value
      - .offset:         48
        .size:           8
        .value_kind:     by_value
      - .offset:         56
        .size:           8
        .value_kind:     by_value
      - .offset:         64
        .size:           8
        .value_kind:     by_value
      - .offset:         72
        .size:           8
        .value_kind:     by_value
      - .offset:         80
        .size:           8
        .value_kind:     by_value
      - .offset:         88
        .size:           8
        .value_kind:     by_value
      - .offset:         96
        .size:           8
        .value_kind:     by_value
      - .offset:         104
        .size:           8
        .value_kind:     by_value
      - .offset:         112
        .size:           8
        .value_kind:     by_value
      - .offset:         120
        .size:           8
        .value_kind:     by_value
      - .offset:         128
        .size:           8
        .value_kind:     by_value
      - .offset:         136
        .size:           12
        .value_kind:     by_value
      - .offset:         148
        .size:           12
        .value_kind:     by_value
      - .offset:         160
        .size:           12
        .value_kind:     by_value
      - .offset:         172
        .size:           12
        .value_kind:     by_value
      - .offset:         184
        .size:           12
        .value_kind:     by_value
      - .offset:         200
        .size:           4
        .value_kind:     hidden_block_count_x
      - .offset:         204
        .size:           4
        .value_kind:     hidden_block_count_y
      - .offset:         208
        .size:           4
        .value_kind:     hidden_block_count_z
      - .offset:         212
        .size:           2
        .value_kind:     hidden_group_size_x
      - .offset:         214
        .size:           2
        .value_kind:     hidden_group_size_y
      - .offset:         216
        .size:           2
        .value_kind:     hidden_group_size_z
      - .offset:         218
        .size:           2
        .value_kind:     hidden_remainder_x
      - .offset:         220
        .size:           2
        .value_kind:     hidden_remainder_y
      - .offset:         222
        .size:           2
        .value_kind:     hidden_remainder_z
      - .offset:         240
        .size:           8
        .value_kind:     hidden_global_offset_x
      - .offset:         248
        .size:           8
        .value_kind:     hidden_global_offset_y
      - .offset:         256
        .size:           8
        .value_kind:     hidden_global_offset_z
      - .offset:         264
        .size:           2
        .value_kind:     hidden_grid_dims
    .group_segment_fixed_size: 0
    .kernarg_segment_align: 8
    .kernarg_segment_size: 456
    .language:       OpenCL C
    .language_version:
      - 2
      - 0
    .max_flat_workgroup_size: 1024
    .name:           _ZL16k_set_rows_quantIi10block_q4_1Li32ETnPFvPKfPT0_EXadL_ZL23quantize_f32_q4_1_blockS2_PS0_EEEvS2_PKT_S4_llllllllllllll15HIP_vector_typeIjLj3EESC_SC_SC_SC_
    .private_segment_fixed_size: 0
    .sgpr_count:     44
    .sgpr_spill_count: 0
    .symbol:         _ZL16k_set_rows_quantIi10block_q4_1Li32ETnPFvPKfPT0_EXadL_ZL23quantize_f32_q4_1_blockS2_PS0_EEEvS2_PKT_S4_llllllllllllll15HIP_vector_typeIjLj3EESC_SC_SC_SC_.kd
    .uniform_work_group_size: 1
    .uses_dynamic_stack: false
    .vgpr_count:     46
    .vgpr_spill_count: 0
    .wavefront_size: 64
  - .args:
      - .actual_access:  read_only
        .address_space:  global
        .offset:         0
        .size:           8
        .value_kind:     global_buffer
      - .actual_access:  read_only
        .address_space:  global
        .offset:         8
        .size:           8
        .value_kind:     global_buffer
      - .actual_access:  write_only
        .address_space:  global
        .offset:         16
        .size:           8
        .value_kind:     global_buffer
      - .offset:         24
        .size:           8
        .value_kind:     by_value
      - .offset:         32
        .size:           8
        .value_kind:     by_value
      - .offset:         40
        .size:           8
        .value_kind:     by_value
      - .offset:         48
        .size:           8
        .value_kind:     by_value
      - .offset:         56
        .size:           8
        .value_kind:     by_value
      - .offset:         64
        .size:           8
        .value_kind:     by_value
      - .offset:         72
        .size:           8
        .value_kind:     by_value
      - .offset:         80
        .size:           8
        .value_kind:     by_value
      - .offset:         88
        .size:           8
        .value_kind:     by_value
      - .offset:         96
        .size:           8
        .value_kind:     by_value
      - .offset:         104
        .size:           8
        .value_kind:     by_value
      - .offset:         112
        .size:           8
        .value_kind:     by_value
      - .offset:         120
        .size:           8
        .value_kind:     by_value
      - .offset:         128
        .size:           8
        .value_kind:     by_value
      - .offset:         136
        .size:           12
        .value_kind:     by_value
      - .offset:         148
        .size:           12
        .value_kind:     by_value
      - .offset:         160
        .size:           12
        .value_kind:     by_value
      - .offset:         172
        .size:           12
        .value_kind:     by_value
      - .offset:         184
        .size:           12
        .value_kind:     by_value
      - .offset:         200
        .size:           4
        .value_kind:     hidden_block_count_x
      - .offset:         204
        .size:           4
        .value_kind:     hidden_block_count_y
      - .offset:         208
        .size:           4
        .value_kind:     hidden_block_count_z
      - .offset:         212
        .size:           2
        .value_kind:     hidden_group_size_x
      - .offset:         214
        .size:           2
        .value_kind:     hidden_group_size_y
      - .offset:         216
        .size:           2
        .value_kind:     hidden_group_size_z
      - .offset:         218
        .size:           2
        .value_kind:     hidden_remainder_x
      - .offset:         220
        .size:           2
        .value_kind:     hidden_remainder_y
      - .offset:         222
        .size:           2
        .value_kind:     hidden_remainder_z
      - .offset:         240
        .size:           8
        .value_kind:     hidden_global_offset_x
      - .offset:         248
        .size:           8
        .value_kind:     hidden_global_offset_y
      - .offset:         256
        .size:           8
        .value_kind:     hidden_global_offset_z
      - .offset:         264
        .size:           2
        .value_kind:     hidden_grid_dims
    .group_segment_fixed_size: 0
    .kernarg_segment_align: 8
    .kernarg_segment_size: 456
    .language:       OpenCL C
    .language_version:
      - 2
      - 0
    .max_flat_workgroup_size: 1024
    .name:           _ZL16k_set_rows_quantIi10block_q5_0Li32ETnPFvPKfPT0_EXadL_ZL23quantize_f32_q5_0_blockS2_PS0_EEEvS2_PKT_S4_llllllllllllll15HIP_vector_typeIjLj3EESC_SC_SC_SC_
    .private_segment_fixed_size: 0
    .sgpr_count:     44
    .sgpr_spill_count: 0
    .symbol:         _ZL16k_set_rows_quantIi10block_q5_0Li32ETnPFvPKfPT0_EXadL_ZL23quantize_f32_q5_0_blockS2_PS0_EEEvS2_PKT_S4_llllllllllllll15HIP_vector_typeIjLj3EESC_SC_SC_SC_.kd
    .uniform_work_group_size: 1
    .uses_dynamic_stack: false
    .vgpr_count:     22
    .vgpr_spill_count: 0
    .wavefront_size: 64
  - .args:
      - .actual_access:  read_only
        .address_space:  global
        .offset:         0
        .size:           8
        .value_kind:     global_buffer
      - .actual_access:  read_only
        .address_space:  global
        .offset:         8
        .size:           8
        .value_kind:     global_buffer
      - .actual_access:  write_only
        .address_space:  global
        .offset:         16
        .size:           8
        .value_kind:     global_buffer
      - .offset:         24
        .size:           8
        .value_kind:     by_value
      - .offset:         32
        .size:           8
        .value_kind:     by_value
      - .offset:         40
        .size:           8
        .value_kind:     by_value
      - .offset:         48
        .size:           8
        .value_kind:     by_value
      - .offset:         56
        .size:           8
        .value_kind:     by_value
      - .offset:         64
        .size:           8
        .value_kind:     by_value
      - .offset:         72
        .size:           8
        .value_kind:     by_value
      - .offset:         80
        .size:           8
        .value_kind:     by_value
      - .offset:         88
        .size:           8
        .value_kind:     by_value
      - .offset:         96
        .size:           8
        .value_kind:     by_value
      - .offset:         104
        .size:           8
        .value_kind:     by_value
      - .offset:         112
        .size:           8
        .value_kind:     by_value
      - .offset:         120
        .size:           8
        .value_kind:     by_value
      - .offset:         128
        .size:           8
        .value_kind:     by_value
      - .offset:         136
        .size:           12
        .value_kind:     by_value
      - .offset:         148
        .size:           12
        .value_kind:     by_value
      - .offset:         160
        .size:           12
        .value_kind:     by_value
      - .offset:         172
        .size:           12
        .value_kind:     by_value
      - .offset:         184
        .size:           12
        .value_kind:     by_value
      - .offset:         200
        .size:           4
        .value_kind:     hidden_block_count_x
      - .offset:         204
        .size:           4
        .value_kind:     hidden_block_count_y
      - .offset:         208
        .size:           4
        .value_kind:     hidden_block_count_z
      - .offset:         212
        .size:           2
        .value_kind:     hidden_group_size_x
      - .offset:         214
        .size:           2
        .value_kind:     hidden_group_size_y
      - .offset:         216
        .size:           2
        .value_kind:     hidden_group_size_z
      - .offset:         218
        .size:           2
        .value_kind:     hidden_remainder_x
      - .offset:         220
        .size:           2
        .value_kind:     hidden_remainder_y
      - .offset:         222
        .size:           2
        .value_kind:     hidden_remainder_z
      - .offset:         240
        .size:           8
        .value_kind:     hidden_global_offset_x
      - .offset:         248
        .size:           8
        .value_kind:     hidden_global_offset_y
      - .offset:         256
        .size:           8
        .value_kind:     hidden_global_offset_z
      - .offset:         264
        .size:           2
        .value_kind:     hidden_grid_dims
    .group_segment_fixed_size: 0
    .kernarg_segment_align: 8
    .kernarg_segment_size: 456
    .language:       OpenCL C
    .language_version:
      - 2
      - 0
    .max_flat_workgroup_size: 1024
    .name:           _ZL16k_set_rows_quantIi10block_q5_1Li32ETnPFvPKfPT0_EXadL_ZL23quantize_f32_q5_1_blockS2_PS0_EEEvS2_PKT_S4_llllllllllllll15HIP_vector_typeIjLj3EESC_SC_SC_SC_
    .private_segment_fixed_size: 0
    .sgpr_count:     44
    .sgpr_spill_count: 0
    .symbol:         _ZL16k_set_rows_quantIi10block_q5_1Li32ETnPFvPKfPT0_EXadL_ZL23quantize_f32_q5_1_blockS2_PS0_EEEvS2_PKT_S4_llllllllllllll15HIP_vector_typeIjLj3EESC_SC_SC_SC_.kd
    .uniform_work_group_size: 1
    .uses_dynamic_stack: false
    .vgpr_count:     23
    .vgpr_spill_count: 0
    .wavefront_size: 64
  - .args:
      - .actual_access:  read_only
        .address_space:  global
        .offset:         0
        .size:           8
        .value_kind:     global_buffer
      - .actual_access:  read_only
        .address_space:  global
        .offset:         8
        .size:           8
        .value_kind:     global_buffer
      - .actual_access:  write_only
        .address_space:  global
        .offset:         16
        .size:           8
        .value_kind:     global_buffer
      - .offset:         24
        .size:           8
        .value_kind:     by_value
      - .offset:         32
        .size:           8
        .value_kind:     by_value
      - .offset:         40
        .size:           8
        .value_kind:     by_value
      - .offset:         48
        .size:           8
        .value_kind:     by_value
      - .offset:         56
        .size:           8
        .value_kind:     by_value
      - .offset:         64
        .size:           8
        .value_kind:     by_value
      - .offset:         72
        .size:           8
        .value_kind:     by_value
      - .offset:         80
        .size:           8
        .value_kind:     by_value
      - .offset:         88
        .size:           8
        .value_kind:     by_value
      - .offset:         96
        .size:           8
        .value_kind:     by_value
      - .offset:         104
        .size:           8
        .value_kind:     by_value
      - .offset:         112
        .size:           8
        .value_kind:     by_value
      - .offset:         120
        .size:           8
        .value_kind:     by_value
      - .offset:         128
        .size:           8
        .value_kind:     by_value
      - .offset:         136
        .size:           12
        .value_kind:     by_value
      - .offset:         148
        .size:           12
        .value_kind:     by_value
      - .offset:         160
        .size:           12
        .value_kind:     by_value
      - .offset:         172
        .size:           12
        .value_kind:     by_value
      - .offset:         184
        .size:           12
        .value_kind:     by_value
      - .offset:         200
        .size:           4
        .value_kind:     hidden_block_count_x
      - .offset:         204
        .size:           4
        .value_kind:     hidden_block_count_y
      - .offset:         208
        .size:           4
        .value_kind:     hidden_block_count_z
      - .offset:         212
        .size:           2
        .value_kind:     hidden_group_size_x
      - .offset:         214
        .size:           2
        .value_kind:     hidden_group_size_y
      - .offset:         216
        .size:           2
        .value_kind:     hidden_group_size_z
      - .offset:         218
        .size:           2
        .value_kind:     hidden_remainder_x
      - .offset:         220
        .size:           2
        .value_kind:     hidden_remainder_y
      - .offset:         222
        .size:           2
        .value_kind:     hidden_remainder_z
      - .offset:         240
        .size:           8
        .value_kind:     hidden_global_offset_x
      - .offset:         248
        .size:           8
        .value_kind:     hidden_global_offset_y
      - .offset:         256
        .size:           8
        .value_kind:     hidden_global_offset_z
      - .offset:         264
        .size:           2
        .value_kind:     hidden_grid_dims
    .group_segment_fixed_size: 0
    .kernarg_segment_align: 8
    .kernarg_segment_size: 456
    .language:       OpenCL C
    .language_version:
      - 2
      - 0
    .max_flat_workgroup_size: 1024
    .name:           _ZL16k_set_rows_quantIi10block_q8_0Li32ETnPFvPKfPT0_EXadL_ZL23quantize_f32_q8_0_blockS2_PS0_EEEvS2_PKT_S4_llllllllllllll15HIP_vector_typeIjLj3EESC_SC_SC_SC_
    .private_segment_fixed_size: 0
    .sgpr_count:     44
    .sgpr_spill_count: 0
    .symbol:         _ZL16k_set_rows_quantIi10block_q8_0Li32ETnPFvPKfPT0_EXadL_ZL23quantize_f32_q8_0_blockS2_PS0_EEEvS2_PKT_S4_llllllllllllll15HIP_vector_typeIjLj3EESC_SC_SC_SC_.kd
    .uniform_work_group_size: 1
    .uses_dynamic_stack: false
    .vgpr_count:     44
    .vgpr_spill_count: 0
    .wavefront_size: 64
  - .args:
      - .actual_access:  read_only
        .address_space:  global
        .offset:         0
        .size:           8
        .value_kind:     global_buffer
      - .actual_access:  read_only
        .address_space:  global
        .offset:         8
        .size:           8
        .value_kind:     global_buffer
      - .actual_access:  write_only
        .address_space:  global
        .offset:         16
        .size:           8
        .value_kind:     global_buffer
      - .offset:         24
        .size:           8
        .value_kind:     by_value
      - .offset:         32
        .size:           8
        .value_kind:     by_value
      - .offset:         40
        .size:           8
        .value_kind:     by_value
      - .offset:         48
        .size:           8
        .value_kind:     by_value
      - .offset:         56
        .size:           8
        .value_kind:     by_value
      - .offset:         64
        .size:           8
        .value_kind:     by_value
      - .offset:         72
        .size:           8
        .value_kind:     by_value
      - .offset:         80
        .size:           8
        .value_kind:     by_value
      - .offset:         88
        .size:           8
        .value_kind:     by_value
      - .offset:         96
        .size:           8
        .value_kind:     by_value
      - .offset:         104
        .size:           8
        .value_kind:     by_value
      - .offset:         112
        .size:           8
        .value_kind:     by_value
      - .offset:         120
        .size:           8
        .value_kind:     by_value
      - .offset:         128
        .size:           8
        .value_kind:     by_value
      - .offset:         136
        .size:           12
        .value_kind:     by_value
      - .offset:         148
        .size:           12
        .value_kind:     by_value
      - .offset:         160
        .size:           12
        .value_kind:     by_value
      - .offset:         172
        .size:           12
        .value_kind:     by_value
      - .offset:         184
        .size:           12
        .value_kind:     by_value
      - .offset:         200
        .size:           4
        .value_kind:     hidden_block_count_x
      - .offset:         204
        .size:           4
        .value_kind:     hidden_block_count_y
      - .offset:         208
        .size:           4
        .value_kind:     hidden_block_count_z
      - .offset:         212
        .size:           2
        .value_kind:     hidden_group_size_x
      - .offset:         214
        .size:           2
        .value_kind:     hidden_group_size_y
      - .offset:         216
        .size:           2
        .value_kind:     hidden_group_size_z
      - .offset:         218
        .size:           2
        .value_kind:     hidden_remainder_x
      - .offset:         220
        .size:           2
        .value_kind:     hidden_remainder_y
      - .offset:         222
        .size:           2
        .value_kind:     hidden_remainder_z
      - .offset:         240
        .size:           8
        .value_kind:     hidden_global_offset_x
      - .offset:         248
        .size:           8
        .value_kind:     hidden_global_offset_y
      - .offset:         256
        .size:           8
        .value_kind:     hidden_global_offset_z
      - .offset:         264
        .size:           2
        .value_kind:     hidden_grid_dims
    .group_segment_fixed_size: 0
    .kernarg_segment_align: 8
    .kernarg_segment_size: 456
    .language:       OpenCL C
    .language_version:
      - 2
      - 0
    .max_flat_workgroup_size: 1024
    .name:           _ZL16k_set_rows_quantIi12block_iq4_nlLi32ETnPFvPKfPT0_EXadL_ZL25quantize_f32_iq4_nl_blockS2_PS0_EEEvS2_PKT_S4_llllllllllllll15HIP_vector_typeIjLj3EESC_SC_SC_SC_
    .private_segment_fixed_size: 0
    .sgpr_count:     44
    .sgpr_spill_count: 0
    .symbol:         _ZL16k_set_rows_quantIi12block_iq4_nlLi32ETnPFvPKfPT0_EXadL_ZL25quantize_f32_iq4_nl_blockS2_PS0_EEEvS2_PKT_S4_llllllllllllll15HIP_vector_typeIjLj3EESC_SC_SC_SC_.kd
    .uniform_work_group_size: 1
    .uses_dynamic_stack: false
    .vgpr_count:     20
    .vgpr_spill_count: 0
    .wavefront_size: 64
amdhsa.target:   amdgcn-amd-amdhsa--gfx906
amdhsa.version:
  - 1
  - 2
...

	.end_amdgpu_metadata
